;; amdgpu-corpus repo=ROCm/rocFFT kind=compiled arch=gfx950 opt=O3
	.text
	.amdgcn_target "amdgcn-amd-amdhsa--gfx950"
	.amdhsa_code_object_version 6
	.protected	fft_rtc_back_len182_factors_13_2_7_wgs_52_tpt_13_sp_op_CI_CI_unitstride_sbrr_dirReg ; -- Begin function fft_rtc_back_len182_factors_13_2_7_wgs_52_tpt_13_sp_op_CI_CI_unitstride_sbrr_dirReg
	.globl	fft_rtc_back_len182_factors_13_2_7_wgs_52_tpt_13_sp_op_CI_CI_unitstride_sbrr_dirReg
	.p2align	8
	.type	fft_rtc_back_len182_factors_13_2_7_wgs_52_tpt_13_sp_op_CI_CI_unitstride_sbrr_dirReg,@function
fft_rtc_back_len182_factors_13_2_7_wgs_52_tpt_13_sp_op_CI_CI_unitstride_sbrr_dirReg: ; @fft_rtc_back_len182_factors_13_2_7_wgs_52_tpt_13_sp_op_CI_CI_unitstride_sbrr_dirReg
; %bb.0:
	s_load_dwordx4 s[4:7], s[0:1], 0x58
	s_load_dwordx4 s[8:11], s[0:1], 0x0
	;; [unrolled: 1-line block ×3, first 2 shown]
	v_mul_u32_u24_e32 v1, 0x13b2, v0
	v_lshrrev_b32_e32 v35, 16, v1
	v_lshl_add_u32 v6, s2, 2, v35
	v_mov_b32_e32 v4, 0
	s_waitcnt lgkmcnt(0)
	v_cmp_lt_u64_e64 s[2:3], s[10:11], 2
	v_mov_b32_e32 v7, v4
	s_and_b64 vcc, exec, s[2:3]
	v_mov_b64_e32 v[36:37], 0
	s_cbranch_vccnz .LBB0_8
; %bb.1:
	s_load_dwordx2 s[2:3], s[0:1], 0x10
	s_add_u32 s16, s14, 8
	s_addc_u32 s17, s15, 0
	s_add_u32 s18, s12, 8
	s_addc_u32 s19, s13, 0
	s_waitcnt lgkmcnt(0)
	s_add_u32 s20, s2, 8
	v_mov_b64_e32 v[36:37], 0
	s_addc_u32 s21, s3, 0
	s_mov_b64 s[22:23], 1
	v_mov_b64_e32 v[32:33], v[36:37]
.LBB0_2:                                ; =>This Inner Loop Header: Depth=1
	s_load_dwordx2 s[24:25], s[20:21], 0x0
                                        ; implicit-def: $vgpr2_vgpr3
	s_waitcnt lgkmcnt(0)
	v_or_b32_e32 v5, s25, v7
	v_cmp_ne_u64_e32 vcc, 0, v[4:5]
	s_and_saveexec_b64 s[2:3], vcc
	s_xor_b64 s[26:27], exec, s[2:3]
	s_cbranch_execz .LBB0_4
; %bb.3:                                ;   in Loop: Header=BB0_2 Depth=1
	v_cvt_f32_u32_e32 v1, s24
	v_cvt_f32_u32_e32 v2, s25
	s_sub_u32 s2, 0, s24
	s_subb_u32 s3, 0, s25
	v_fmac_f32_e32 v1, 0x4f800000, v2
	v_rcp_f32_e32 v1, v1
	s_nop 0
	v_mul_f32_e32 v1, 0x5f7ffffc, v1
	v_mul_f32_e32 v2, 0x2f800000, v1
	v_trunc_f32_e32 v2, v2
	v_fmac_f32_e32 v1, 0xcf800000, v2
	v_cvt_u32_f32_e32 v5, v2
	v_cvt_u32_f32_e32 v1, v1
	v_mul_lo_u32 v2, s2, v5
	v_mul_hi_u32 v8, s2, v1
	v_mul_lo_u32 v3, s3, v1
	v_add_u32_e32 v8, v8, v2
	v_mul_lo_u32 v10, s2, v1
	v_add_u32_e32 v11, v8, v3
	v_mul_hi_u32 v2, v1, v10
	v_mul_hi_u32 v9, v1, v11
	v_mul_lo_u32 v8, v1, v11
	v_mov_b32_e32 v3, v4
	v_lshl_add_u64 v[2:3], v[2:3], 0, v[8:9]
	v_mul_hi_u32 v9, v5, v10
	v_mul_lo_u32 v10, v5, v10
	v_add_co_u32_e32 v2, vcc, v2, v10
	v_mul_hi_u32 v8, v5, v11
	s_nop 0
	v_addc_co_u32_e32 v2, vcc, v3, v9, vcc
	v_mov_b32_e32 v3, v4
	s_nop 0
	v_addc_co_u32_e32 v9, vcc, 0, v8, vcc
	v_mul_lo_u32 v8, v5, v11
	v_lshl_add_u64 v[2:3], v[2:3], 0, v[8:9]
	v_add_co_u32_e32 v1, vcc, v1, v2
	v_mul_lo_u32 v8, s2, v1
	s_nop 0
	v_addc_co_u32_e32 v5, vcc, v5, v3, vcc
	v_mul_lo_u32 v2, s2, v5
	v_mul_hi_u32 v3, s2, v1
	v_add_u32_e32 v2, v3, v2
	v_mul_lo_u32 v3, s3, v1
	v_add_u32_e32 v10, v2, v3
	v_mul_hi_u32 v12, v5, v8
	v_mul_lo_u32 v13, v5, v8
	v_mul_hi_u32 v3, v1, v10
	v_mul_lo_u32 v2, v1, v10
	v_mul_hi_u32 v8, v1, v8
	v_mov_b32_e32 v9, v4
	v_lshl_add_u64 v[2:3], v[8:9], 0, v[2:3]
	v_add_co_u32_e32 v2, vcc, v2, v13
	v_mul_hi_u32 v11, v5, v10
	s_nop 0
	v_addc_co_u32_e32 v2, vcc, v3, v12, vcc
	v_mul_lo_u32 v8, v5, v10
	s_nop 0
	v_addc_co_u32_e32 v9, vcc, 0, v11, vcc
	v_mov_b32_e32 v3, v4
	v_lshl_add_u64 v[2:3], v[2:3], 0, v[8:9]
	v_add_co_u32_e32 v1, vcc, v1, v2
	v_mul_hi_u32 v8, v6, v1
	s_nop 0
	v_addc_co_u32_e32 v5, vcc, v5, v3, vcc
	v_mad_u64_u32 v[2:3], s[2:3], v6, v5, 0
	v_mov_b32_e32 v9, v4
	v_lshl_add_u64 v[2:3], v[8:9], 0, v[2:3]
	v_mad_u64_u32 v[10:11], s[2:3], v7, v1, 0
	v_add_co_u32_e32 v1, vcc, v2, v10
	v_mad_u64_u32 v[8:9], s[2:3], v7, v5, 0
	s_nop 0
	v_addc_co_u32_e32 v2, vcc, v3, v11, vcc
	v_mov_b32_e32 v3, v4
	s_nop 0
	v_addc_co_u32_e32 v9, vcc, 0, v9, vcc
	v_lshl_add_u64 v[2:3], v[2:3], 0, v[8:9]
	v_mul_lo_u32 v1, s25, v2
	v_mul_lo_u32 v5, s24, v3
	v_mad_u64_u32 v[8:9], s[2:3], s24, v2, 0
	v_add3_u32 v1, v9, v5, v1
	v_sub_u32_e32 v5, v7, v1
	v_mov_b32_e32 v9, s25
	v_sub_co_u32_e32 v12, vcc, v6, v8
	v_lshl_add_u64 v[10:11], v[2:3], 0, 1
	s_nop 0
	v_subb_co_u32_e64 v5, s[2:3], v5, v9, vcc
	v_subrev_co_u32_e64 v8, s[2:3], s24, v12
	v_subb_co_u32_e32 v1, vcc, v7, v1, vcc
	s_nop 0
	v_subbrev_co_u32_e64 v5, s[2:3], 0, v5, s[2:3]
	v_cmp_le_u32_e64 s[2:3], s25, v5
	v_cmp_le_u32_e32 vcc, s25, v1
	s_nop 0
	v_cndmask_b32_e64 v9, 0, -1, s[2:3]
	v_cmp_le_u32_e64 s[2:3], s24, v8
	s_nop 1
	v_cndmask_b32_e64 v8, 0, -1, s[2:3]
	v_cmp_eq_u32_e64 s[2:3], s25, v5
	s_nop 1
	v_cndmask_b32_e64 v5, v9, v8, s[2:3]
	v_lshl_add_u64 v[8:9], v[2:3], 0, 2
	v_cmp_ne_u32_e64 s[2:3], 0, v5
	s_nop 1
	v_cndmask_b32_e64 v5, v11, v9, s[2:3]
	v_cndmask_b32_e64 v9, 0, -1, vcc
	v_cmp_le_u32_e32 vcc, s24, v12
	s_nop 1
	v_cndmask_b32_e64 v11, 0, -1, vcc
	v_cmp_eq_u32_e32 vcc, s25, v1
	s_nop 1
	v_cndmask_b32_e32 v1, v9, v11, vcc
	v_cmp_ne_u32_e32 vcc, 0, v1
	v_cndmask_b32_e64 v1, v10, v8, s[2:3]
	s_nop 0
	v_cndmask_b32_e32 v3, v3, v5, vcc
	v_cndmask_b32_e32 v2, v2, v1, vcc
.LBB0_4:                                ;   in Loop: Header=BB0_2 Depth=1
	s_andn2_saveexec_b64 s[2:3], s[26:27]
	s_cbranch_execz .LBB0_6
; %bb.5:                                ;   in Loop: Header=BB0_2 Depth=1
	v_cvt_f32_u32_e32 v1, s24
	s_sub_i32 s26, 0, s24
	v_rcp_iflag_f32_e32 v1, v1
	s_nop 0
	v_mul_f32_e32 v1, 0x4f7ffffe, v1
	v_cvt_u32_f32_e32 v1, v1
	v_mul_lo_u32 v2, s26, v1
	v_mul_hi_u32 v2, v1, v2
	v_add_u32_e32 v1, v1, v2
	v_mul_hi_u32 v1, v6, v1
	v_mul_lo_u32 v2, v1, s24
	v_sub_u32_e32 v2, v6, v2
	v_add_u32_e32 v3, 1, v1
	v_subrev_u32_e32 v5, s24, v2
	v_cmp_le_u32_e32 vcc, s24, v2
	s_nop 1
	v_cndmask_b32_e32 v2, v2, v5, vcc
	v_cndmask_b32_e32 v1, v1, v3, vcc
	v_add_u32_e32 v3, 1, v1
	v_cmp_le_u32_e32 vcc, s24, v2
	s_nop 1
	v_cndmask_b32_e32 v2, v1, v3, vcc
	v_mov_b32_e32 v3, v4
.LBB0_6:                                ;   in Loop: Header=BB0_2 Depth=1
	s_or_b64 exec, exec, s[2:3]
	v_mad_u64_u32 v[8:9], s[2:3], v2, s24, 0
	s_load_dwordx2 s[2:3], s[18:19], 0x0
	v_mul_lo_u32 v1, v3, s24
	v_mul_lo_u32 v5, v2, s25
	s_load_dwordx2 s[24:25], s[16:17], 0x0
	s_add_u32 s22, s22, 1
	v_add3_u32 v1, v9, v5, v1
	v_sub_co_u32_e32 v5, vcc, v6, v8
	s_addc_u32 s23, s23, 0
	s_nop 0
	v_subb_co_u32_e32 v1, vcc, v7, v1, vcc
	s_add_u32 s16, s16, 8
	s_waitcnt lgkmcnt(0)
	v_mul_lo_u32 v6, s2, v1
	v_mul_lo_u32 v7, s3, v5
	v_mad_u64_u32 v[36:37], s[2:3], s2, v5, v[36:37]
	s_addc_u32 s17, s17, 0
	v_add3_u32 v37, v7, v37, v6
	v_mul_lo_u32 v1, s24, v1
	v_mul_lo_u32 v6, s25, v5
	v_mad_u64_u32 v[32:33], s[2:3], s24, v5, v[32:33]
	s_add_u32 s18, s18, 8
	v_add3_u32 v33, v6, v33, v1
	s_addc_u32 s19, s19, 0
	v_mov_b64_e32 v[6:7], s[10:11]
	s_add_u32 s20, s20, 8
	v_cmp_ge_u64_e32 vcc, s[22:23], v[6:7]
	s_addc_u32 s21, s21, 0
	s_cbranch_vccnz .LBB0_9
; %bb.7:                                ;   in Loop: Header=BB0_2 Depth=1
	v_mov_b64_e32 v[6:7], v[2:3]
	s_branch .LBB0_2
.LBB0_8:
	v_mov_b64_e32 v[32:33], v[36:37]
	v_mov_b64_e32 v[2:3], v[6:7]
.LBB0_9:
	s_load_dwordx2 s[0:1], s[0:1], 0x28
	s_lshl_b64 s[16:17], s[10:11], 3
	s_add_u32 s2, s14, s16
	s_addc_u32 s3, s15, s17
                                        ; implicit-def: $sgpr14
                                        ; implicit-def: $vgpr34
	s_waitcnt lgkmcnt(0)
	v_cmp_gt_u64_e32 vcc, s[0:1], v[2:3]
	v_cmp_le_u64_e64 s[0:1], s[0:1], v[2:3]
	s_and_saveexec_b64 s[10:11], s[0:1]
	s_xor_b64 s[0:1], exec, s[10:11]
; %bb.10:
	s_mov_b32 s10, 0x13b13b14
	v_mul_hi_u32 v1, v0, s10
	v_mul_u32_u24_e32 v1, 13, v1
	v_sub_u32_e32 v34, v0, v1
	s_mov_b32 s14, 0
                                        ; implicit-def: $vgpr0
                                        ; implicit-def: $vgpr36_vgpr37
; %bb.11:
	s_or_saveexec_b64 s[10:11], s[0:1]
	s_load_dwordx2 s[2:3], s[2:3], 0x0
	v_mov_b32_e32 v4, s14
	v_mov_b32_e32 v5, s14
                                        ; implicit-def: $vgpr6
                                        ; implicit-def: $vgpr8
                                        ; implicit-def: $vgpr10
                                        ; implicit-def: $vgpr12
                                        ; implicit-def: $vgpr14
                                        ; implicit-def: $vgpr16
                                        ; implicit-def: $vgpr18
                                        ; implicit-def: $vgpr20
                                        ; implicit-def: $vgpr22
                                        ; implicit-def: $vgpr24
                                        ; implicit-def: $vgpr26
                                        ; implicit-def: $vgpr28
                                        ; implicit-def: $vgpr46
                                        ; implicit-def: $vgpr48
                                        ; implicit-def: $vgpr50
                                        ; implicit-def: $vgpr52
                                        ; implicit-def: $vgpr54
                                        ; implicit-def: $vgpr56
                                        ; implicit-def: $vgpr58
                                        ; implicit-def: $vgpr60
                                        ; implicit-def: $vgpr62
                                        ; implicit-def: $vgpr30
                                        ; implicit-def: $vgpr38
                                        ; implicit-def: $vgpr64
                                        ; implicit-def: $vgpr66
	s_xor_b64 exec, exec, s[10:11]
	s_cbranch_execz .LBB0_15
; %bb.12:
	s_add_u32 s0, s12, s16
	s_addc_u32 s1, s13, s17
	s_load_dwordx2 s[0:1], s[0:1], 0x0
	s_mov_b32 s12, 0x13b13b14
                                        ; implicit-def: $vgpr29
                                        ; implicit-def: $vgpr27
                                        ; implicit-def: $vgpr25
                                        ; implicit-def: $vgpr23
                                        ; implicit-def: $vgpr21
                                        ; implicit-def: $vgpr19
                                        ; implicit-def: $vgpr17
                                        ; implicit-def: $vgpr15
                                        ; implicit-def: $vgpr13
                                        ; implicit-def: $vgpr11
                                        ; implicit-def: $vgpr9
                                        ; implicit-def: $vgpr7
	s_waitcnt lgkmcnt(0)
	v_mul_lo_u32 v1, s1, v2
	v_mul_lo_u32 v6, s0, v3
	v_mad_u64_u32 v[4:5], s[0:1], s0, v2, 0
	v_add3_u32 v5, v5, v6, v1
	v_mul_hi_u32 v1, v0, s12
	v_mul_u32_u24_e32 v1, 13, v1
	v_sub_u32_e32 v34, v0, v1
	v_lshl_add_u64 v[0:1], v[4:5], 3, s[4:5]
	v_lshl_add_u64 v[0:1], v[36:37], 3, v[0:1]
	v_lshlrev_b32_e32 v4, 3, v34
	v_mov_b32_e32 v5, 0
	v_lshl_add_u64 v[4:5], v[0:1], 0, v[4:5]
	global_load_dwordx2 v[30:31], v[4:5], off
	global_load_dwordx2 v[38:39], v[4:5], off offset:112
	global_load_dwordx2 v[64:65], v[4:5], off offset:224
	global_load_dwordx2 v[66:67], v[4:5], off offset:336
	global_load_dwordx2 v[48:49], v[4:5], off offset:448
	global_load_dwordx2 v[50:51], v[4:5], off offset:560
	global_load_dwordx2 v[52:53], v[4:5], off offset:672
	global_load_dwordx2 v[54:55], v[4:5], off offset:784
	global_load_dwordx2 v[56:57], v[4:5], off offset:896
	global_load_dwordx2 v[58:59], v[4:5], off offset:1008
	global_load_dwordx2 v[60:61], v[4:5], off offset:1120
	global_load_dwordx2 v[62:63], v[4:5], off offset:1232
	global_load_dwordx2 v[46:47], v[4:5], off offset:1344
	v_cmp_eq_u32_e64 s[0:1], 0, v34
	v_mov_b32_e32 v5, 0
	v_mov_b32_e32 v4, 0
	s_and_saveexec_b64 s[4:5], s[0:1]
	s_cbranch_execz .LBB0_14
; %bb.13:
	global_load_dwordx2 v[4:5], v[0:1], off offset:104
	global_load_dwordx2 v[28:29], v[0:1], off offset:216
	;; [unrolled: 1-line block ×13, first 2 shown]
	v_mov_b32_e32 v34, 0
.LBB0_14:
	s_or_b64 exec, exec, s[4:5]
.LBB0_15:
	s_or_b64 exec, exec, s[10:11]
	s_waitcnt vmcnt(11)
	v_pk_add_f32 v[68:69], v[30:31], v[38:39]
	s_waitcnt vmcnt(1)
	v_pk_add_f32 v[42:43], v[64:65], v[62:63]
	v_pk_add_f32 v[72:73], v[64:65], v[62:63] neg_lo:[0,1] neg_hi:[0,1]
	v_pk_add_f32 v[64:65], v[68:69], v[64:65]
	s_waitcnt vmcnt(0)
	v_pk_add_f32 v[44:45], v[46:47], v[38:39]
	v_pk_add_f32 v[64:65], v[64:65], v[66:67]
	v_pk_add_f32 v[70:71], v[38:39], v[46:47] neg_lo:[0,1] neg_hi:[0,1]
	v_pk_add_f32 v[38:39], v[48:49], v[58:59]
	v_pk_add_f32 v[76:77], v[48:49], v[58:59] neg_lo:[0,1] neg_hi:[0,1]
	v_pk_add_f32 v[48:49], v[64:65], v[48:49]
	s_mov_b32 s50, 0xbeedf032
	v_pk_add_f32 v[48:49], v[48:49], v[50:51]
	v_mov_b32_e32 v94, v71
	v_pk_add_f32 v[48:49], v[48:49], v[52:53]
	v_mov_b32_e32 v95, v45
	v_pk_add_f32 v[48:49], v[48:49], v[54:55]
	s_mov_b32 s51, 0x3f62ad3f
	v_pk_add_f32 v[48:49], v[48:49], v[56:57]
	v_mov_b32_e32 v45, v70
	v_pk_add_f32 v[48:49], v[48:49], v[58:59]
	s_mov_b32 s4, s51
	v_pk_add_f32 v[48:49], v[48:49], v[60:61]
	s_mov_b32 s5, s50
	v_pk_add_f32 v[48:49], v[48:49], v[62:63]
	v_pk_add_f32 v[36:37], v[50:51], v[56:57]
	;; [unrolled: 1-line block ×3, first 2 shown]
	v_pk_mul_f32 v[46:47], v[94:95], s[50:51]
	v_pk_add_f32 v[78:79], v[50:51], v[56:57] neg_lo:[0,1] neg_hi:[0,1]
	v_pk_fma_f32 v[48:49], v[44:45], s[4:5], v[46:47]
	v_pk_fma_f32 v[50:51], v[44:45], s[4:5], v[46:47] neg_lo:[1,0,0] neg_hi:[1,0,0]
	s_mov_b32 s30, 0xbf52af12
	v_and_b32_e32 v0, 3, v35
	v_mov_b32_e32 v50, v48
	v_mov_b32_e32 v96, v73
	;; [unrolled: 1-line block ×3, first 2 shown]
	s_mov_b32 s31, 0x3f116cb1
	v_mul_u32_u24_e32 v35, 0xb6, v0
	v_pk_add_f32 v[0:1], v[52:53], v[54:55]
	v_pk_add_f32 v[80:81], v[52:53], v[54:55] neg_lo:[0,1] neg_hi:[0,1]
	v_pk_add_f32 v[54:55], v[50:51], v[30:31]
	v_pk_mul_f32 v[50:51], v[96:97], s[30:31]
	v_mov_b32_e32 v43, v72
	s_mov_b32 s10, s31
	s_mov_b32 s11, s30
	v_pk_add_f32 v[40:41], v[60:61], v[66:67]
	v_pk_add_f32 v[74:75], v[66:67], v[60:61] neg_lo:[0,1] neg_hi:[0,1]
	v_pk_fma_f32 v[52:53], v[42:43], s[10:11], v[50:51]
	v_pk_fma_f32 v[56:57], v[42:43], s[10:11], v[50:51] neg_lo:[1,0,0] neg_hi:[1,0,0]
	s_mov_b32 s38, 0xbf7e222b
	v_mov_b32_e32 v56, v52
	v_mov_b32_e32 v98, v75
	v_mov_b32_e32 v99, v41
	s_mov_b32 s39, 0x3df6dbef
	v_pk_add_f32 v[58:59], v[56:57], v[54:55]
	v_pk_mul_f32 v[54:55], v[98:99], s[38:39]
	v_mov_b32_e32 v41, v74
	s_mov_b32 s12, s39
	s_mov_b32 s13, s38
	v_pk_fma_f32 v[56:57], v[40:41], s[12:13], v[54:55]
	v_pk_fma_f32 v[60:61], v[40:41], s[12:13], v[54:55] neg_lo:[1,0,0] neg_hi:[1,0,0]
	s_mov_b32 s26, 0xbf6f5d39
	v_mov_b32_e32 v60, v56
	v_mov_b32_e32 v100, v77
	v_mov_b32_e32 v101, v39
	s_mov_b32 s27, 0xbeb58ec6
	v_pk_add_f32 v[62:63], v[58:59], v[60:61]
	v_pk_mul_f32 v[58:59], v[100:101], s[26:27]
	v_mov_b32_e32 v39, v76
	s_mov_b32 s14, s27
	s_mov_b32 s15, s26
	;; [unrolled: 12-line block ×4, first 2 shown]
	v_pk_fma_f32 v[68:69], v[0:1], s[18:19], v[66:67]
	v_pk_fma_f32 v[72:73], v[0:1], s[18:19], v[66:67] neg_lo:[1,0,0] neg_hi:[1,0,0]
	v_mul_u32_u24_e32 v84, 0x68, v34
	v_mov_b32_e32 v72, v68
	v_lshlrev_b32_e32 v126, 3, v35
	v_pk_add_f32 v[70:71], v[72:73], v[70:71]
	v_add3_u32 v48, 0, v84, v126
	v_pk_mul_f32 v[72:73], v[94:95], s[30:31]
	ds_write2_b64 v48, v[82:83], v[70:71] offset1:1
	v_pk_fma_f32 v[70:71], v[44:45], s[10:11], v[72:73]
	v_pk_fma_f32 v[74:75], v[44:45], s[10:11], v[72:73] neg_lo:[1,0,0] neg_hi:[1,0,0]
	v_pk_mul_f32 v[76:77], v[96:97], s[26:27]
	v_mov_b32_e32 v74, v70
	v_pk_add_f32 v[78:79], v[74:75], v[30:31]
	v_pk_fma_f32 v[74:75], v[42:43], s[14:15], v[76:77]
	v_pk_fma_f32 v[80:81], v[42:43], s[14:15], v[76:77] neg_lo:[1,0,0] neg_hi:[1,0,0]
	s_mov_b32 s48, 0x3f29c268
	v_mov_b32_e32 v80, v74
	v_pk_add_f32 v[82:83], v[80:81], v[78:79]
	v_pk_mul_f32 v[80:81], v[98:99], s[36:37]
	s_mov_b32 s49, s35
	v_pk_fma_f32 v[78:79], v[40:41], s[18:19], v[80:81]
	v_pk_fma_f32 v[84:85], v[40:41], s[18:19], v[80:81] neg_lo:[1,0,0] neg_hi:[1,0,0]
	s_mov_b32 s20, s35
	v_mov_b32_e32 v84, v78
	v_pk_add_f32 v[86:87], v[82:83], v[84:85]
	s_mov_b32 s21, s48
	v_pk_mul_f32 v[84:85], v[100:101], s[48:49]
	s_mov_b32 s40, 0x3f7e222b
	v_pk_fma_f32 v[82:83], v[38:39], s[20:21], v[84:85]
	v_pk_fma_f32 v[88:89], v[38:39], s[20:21], v[84:85] neg_lo:[1,0,0] neg_hi:[1,0,0]
	s_mov_b32 s41, s39
	v_mov_b32_e32 v88, v82
	v_pk_add_f32 v[90:91], v[88:89], v[86:87]
	s_mov_b32 s22, s39
	s_mov_b32 s23, s40
	v_pk_mul_f32 v[88:89], v[110:111], s[40:41]
	s_mov_b32 s46, 0x3eedf032
	v_pk_fma_f32 v[86:87], v[36:37], s[22:23], v[88:89]
	v_pk_fma_f32 v[92:93], v[36:37], s[22:23], v[88:89] neg_lo:[1,0,0] neg_hi:[1,0,0]
	s_mov_b32 s47, s51
	v_mov_b32_e32 v92, v86
	v_pk_add_f32 v[102:103], v[92:93], v[90:91]
	s_mov_b32 s24, s51
	s_mov_b32 s25, s46
	v_pk_mul_f32 v[92:93], v[128:129], s[46:47]
	v_pk_mul_f32 v[108:109], v[96:97], s[36:37]
	v_pk_fma_f32 v[90:91], v[0:1], s[24:25], v[92:93]
	v_pk_fma_f32 v[104:105], v[0:1], s[24:25], v[92:93] neg_lo:[1,0,0] neg_hi:[1,0,0]
	v_pk_fma_f32 v[114:115], v[42:43], s[18:19], v[108:109] neg_lo:[1,0,0] neg_hi:[1,0,0]
	v_mov_b32_e32 v104, v90
	v_pk_add_f32 v[130:131], v[104:105], v[102:103]
	v_pk_mul_f32 v[104:105], v[94:95], s[38:39]
	s_mov_b32 s56, 0x3f6f5d39
	v_pk_fma_f32 v[102:103], v[44:45], s[12:13], v[104:105]
	v_pk_fma_f32 v[106:107], v[44:45], s[12:13], v[104:105] neg_lo:[1,0,0] neg_hi:[1,0,0]
	s_mov_b32 s57, s27
	v_mov_b32_e32 v106, v102
	v_pk_add_f32 v[112:113], v[106:107], v[30:31]
	v_pk_fma_f32 v[106:107], v[42:43], s[18:19], v[108:109]
	s_mov_b32 s28, s27
	v_mov_b32_e32 v114, v106
	v_pk_add_f32 v[116:117], v[114:115], v[112:113]
	s_mov_b32 s29, s56
	v_pk_mul_f32 v[114:115], v[98:99], s[56:57]
	v_pk_mul_f32 v[134:135], v[128:129], s[34:35]
	v_pk_fma_f32 v[112:113], v[40:41], s[28:29], v[114:115]
	v_pk_fma_f32 v[118:119], v[40:41], s[28:29], v[114:115] neg_lo:[1,0,0] neg_hi:[1,0,0]
	v_pk_fma_f32 v[136:137], v[0:1], s[16:17], v[134:135] neg_lo:[1,0,0] neg_hi:[1,0,0]
	v_mov_b32_e32 v118, v112
	v_pk_add_f32 v[120:121], v[116:117], v[118:119]
	v_pk_mul_f32 v[118:119], v[100:101], s[46:47]
	v_pk_mul_f32 v[138:139], v[96:97], s[48:49]
	v_pk_fma_f32 v[116:117], v[38:39], s[24:25], v[118:119]
	v_pk_fma_f32 v[122:123], v[38:39], s[24:25], v[118:119] neg_lo:[1,0,0] neg_hi:[1,0,0]
	v_pk_fma_f32 v[140:141], v[42:43], s[20:21], v[138:139]
	v_mov_b32_e32 v122, v116
	v_pk_add_f32 v[124:125], v[122:123], v[120:121]
	v_pk_mul_f32 v[122:123], v[110:111], s[30:31]
	v_pk_fma_f32 v[142:143], v[42:43], s[20:21], v[138:139] neg_lo:[1,0,0] neg_hi:[1,0,0]
	v_pk_fma_f32 v[120:121], v[36:37], s[10:11], v[122:123]
	v_pk_fma_f32 v[132:133], v[36:37], s[10:11], v[122:123] neg_lo:[1,0,0] neg_hi:[1,0,0]
	v_mov_b32_e32 v142, v140
	v_mov_b32_e32 v132, v120
	v_pk_add_f32 v[132:133], v[132:133], v[124:125]
	v_pk_fma_f32 v[124:125], v[0:1], s[16:17], v[134:135]
	s_mov_b32 s54, 0x3e750f2a
	v_mov_b32_e32 v136, v124
	v_pk_add_f32 v[132:133], v[136:137], v[132:133]
	ds_write2_b64 v48, v[130:131], v[132:133] offset0:2 offset1:3
	v_pk_mul_f32 v[130:131], v[94:95], s[26:27]
	s_mov_b32 s55, s37
	v_pk_fma_f32 v[132:133], v[44:45], s[14:15], v[130:131]
	v_pk_fma_f32 v[136:137], v[44:45], s[14:15], v[130:131] neg_lo:[1,0,0] neg_hi:[1,0,0]
	s_mov_b32 s42, s37
	v_mov_b32_e32 v136, v132
	v_pk_add_f32 v[136:137], v[136:137], v[30:31]
	s_mov_b32 s43, s54
	v_pk_add_f32 v[136:137], v[142:143], v[136:137]
	v_pk_mul_f32 v[142:143], v[98:99], s[46:47]
	s_mov_b32 s52, 0x3f52af12
	v_pk_fma_f32 v[144:145], v[40:41], s[24:25], v[142:143]
	v_pk_fma_f32 v[146:147], v[40:41], s[24:25], v[142:143] neg_lo:[1,0,0] neg_hi:[1,0,0]
	s_mov_b32 s53, s31
	v_mov_b32_e32 v146, v144
	v_pk_add_f32 v[136:137], v[136:137], v[146:147]
	v_pk_mul_f32 v[146:147], v[100:101], s[38:39]
	s_mov_b32 s44, s31
	v_pk_fma_f32 v[148:149], v[38:39], s[12:13], v[146:147]
	v_pk_fma_f32 v[150:151], v[38:39], s[12:13], v[146:147] neg_lo:[1,0,0] neg_hi:[1,0,0]
	s_mov_b32 s45, s52
	v_mov_b32_e32 v150, v148
	v_pk_add_f32 v[136:137], v[150:151], v[136:137]
	v_pk_mul_f32 v[150:151], v[110:111], s[54:55]
	v_pk_mul_f32 v[164:165], v[96:97], s[40:41]
	v_pk_fma_f32 v[152:153], v[36:37], s[42:43], v[150:151]
	v_pk_fma_f32 v[154:155], v[36:37], s[42:43], v[150:151] neg_lo:[1,0,0] neg_hi:[1,0,0]
	v_pk_fma_f32 v[166:167], v[42:43], s[22:23], v[164:165]
	v_mov_b32_e32 v154, v152
	v_pk_add_f32 v[136:137], v[154:155], v[136:137]
	v_pk_mul_f32 v[154:155], v[128:129], s[52:53]
	v_pk_fma_f32 v[168:169], v[42:43], s[22:23], v[164:165] neg_lo:[1,0,0] neg_hi:[1,0,0]
	v_pk_fma_f32 v[156:157], v[0:1], s[44:45], v[154:155]
	v_pk_fma_f32 v[158:159], v[0:1], s[44:45], v[154:155] neg_lo:[1,0,0] neg_hi:[1,0,0]
	v_mov_b32_e32 v168, v166
	v_mov_b32_e32 v158, v156
	v_pk_add_f32 v[136:137], v[158:159], v[136:137]
	v_pk_mul_f32 v[158:159], v[94:95], s[34:35]
	v_pk_mul_f32 v[94:95], v[94:95], s[36:37]
	v_pk_fma_f32 v[160:161], v[44:45], s[16:17], v[158:159]
	v_pk_fma_f32 v[162:163], v[44:45], s[16:17], v[158:159] neg_lo:[1,0,0] neg_hi:[1,0,0]
	v_pk_mul_f32 v[96:97], v[96:97], s[46:47]
	v_mov_b32_e32 v162, v160
	v_pk_add_f32 v[162:163], v[162:163], v[30:31]
	v_pk_fma_f32 v[186:187], v[42:43], s[24:25], v[96:97] neg_lo:[1,0,0] neg_hi:[1,0,0]
	v_pk_add_f32 v[162:163], v[168:169], v[162:163]
	v_pk_mul_f32 v[168:169], v[98:99], s[30:31]
	v_pk_mul_f32 v[98:99], v[98:99], s[34:35]
	v_pk_fma_f32 v[170:171], v[40:41], s[10:11], v[168:169]
	v_pk_fma_f32 v[172:173], v[40:41], s[10:11], v[168:169] neg_lo:[1,0,0] neg_hi:[1,0,0]
	v_pk_fma_f32 v[188:189], v[40:41], s[16:17], v[98:99] neg_lo:[1,0,0] neg_hi:[1,0,0]
	v_mov_b32_e32 v172, v170
	v_pk_add_f32 v[162:163], v[162:163], v[172:173]
	v_pk_mul_f32 v[172:173], v[100:101], s[54:55]
	v_pk_mul_f32 v[100:101], v[100:101], s[52:53]
	v_pk_fma_f32 v[174:175], v[38:39], s[42:43], v[172:173]
	v_pk_fma_f32 v[176:177], v[38:39], s[42:43], v[172:173] neg_lo:[1,0,0] neg_hi:[1,0,0]
	v_pk_fma_f32 v[190:191], v[38:39], s[44:45], v[100:101] neg_lo:[1,0,0] neg_hi:[1,0,0]
	v_mov_b32_e32 v176, v174
	;; [unrolled: 7-line block ×4, first 2 shown]
	v_pk_add_f32 v[162:163], v[184:185], v[162:163]
	ds_write2_b64 v48, v[136:137], v[162:163] offset0:4 offset1:5
	v_pk_fma_f32 v[136:137], v[44:45], s[18:19], v[94:95]
	v_pk_fma_f32 v[162:163], v[44:45], s[18:19], v[94:95] neg_lo:[1,0,0] neg_hi:[1,0,0]
	v_pk_fma_f32 v[94:95], v[44:45], s[18:19], v[94:95] neg_lo:[0,0,1] neg_hi:[0,0,1]
	v_mov_b32_e32 v162, v136
	v_pk_fma_f32 v[184:185], v[42:43], s[24:25], v[96:97]
	v_mov_b32_e32 v95, v137
	v_pk_fma_f32 v[96:97], v[42:43], s[24:25], v[96:97] neg_lo:[0,0,1] neg_hi:[0,0,1]
	v_pk_add_f32 v[162:163], v[162:163], v[30:31]
	v_mov_b32_e32 v186, v184
	v_mov_b32_e32 v97, v185
	v_pk_add_f32 v[94:95], v[94:95], v[30:31]
	v_pk_add_f32 v[162:163], v[186:187], v[162:163]
	v_pk_fma_f32 v[186:187], v[40:41], s[16:17], v[98:99]
	v_pk_add_f32 v[94:95], v[96:97], v[94:95]
	v_pk_fma_f32 v[96:97], v[40:41], s[16:17], v[98:99] neg_lo:[0,0,1] neg_hi:[0,0,1]
	v_mov_b32_e32 v188, v186
	v_mov_b32_e32 v97, v187
	v_pk_add_f32 v[162:163], v[162:163], v[188:189]
	v_pk_fma_f32 v[188:189], v[38:39], s[44:45], v[100:101]
	v_pk_add_f32 v[94:95], v[94:95], v[96:97]
	v_pk_fma_f32 v[96:97], v[38:39], s[44:45], v[100:101] neg_lo:[0,0,1] neg_hi:[0,0,1]
	v_mov_b32_e32 v190, v188
	v_mov_b32_e32 v97, v189
	;; [unrolled: 6-line block ×4, first 2 shown]
	v_pk_add_f32 v[162:163], v[194:195], v[162:163]
	v_pk_add_f32 v[94:95], v[96:97], v[94:95]
	ds_write2_b64 v48, v[162:163], v[94:95] offset0:6 offset1:7
	v_pk_fma_f32 v[94:95], v[44:45], s[16:17], v[158:159] neg_lo:[0,0,1] neg_hi:[0,0,1]
	v_pk_fma_f32 v[96:97], v[42:43], s[22:23], v[164:165] neg_lo:[0,0,1] neg_hi:[0,0,1]
	v_mov_b32_e32 v95, v161
	v_mov_b32_e32 v97, v167
	v_pk_add_f32 v[94:95], v[94:95], v[30:31]
	v_pk_fma_f32 v[98:99], v[42:43], s[20:21], v[138:139] neg_lo:[0,0,1] neg_hi:[0,0,1]
	v_pk_add_f32 v[94:95], v[96:97], v[94:95]
	v_pk_fma_f32 v[96:97], v[40:41], s[10:11], v[168:169] neg_lo:[0,0,1] neg_hi:[0,0,1]
	v_mov_b32_e32 v99, v141
	v_mov_b32_e32 v97, v171
	v_pk_add_f32 v[94:95], v[94:95], v[96:97]
	v_pk_fma_f32 v[96:97], v[38:39], s[42:43], v[172:173] neg_lo:[0,0,1] neg_hi:[0,0,1]
	v_pk_fma_f32 v[72:73], v[44:45], s[10:11], v[72:73] neg_lo:[0,0,1] neg_hi:[0,0,1]
	v_mov_b32_e32 v97, v175
	v_pk_add_f32 v[94:95], v[96:97], v[94:95]
	v_pk_fma_f32 v[96:97], v[36:37], s[24:25], v[176:177] neg_lo:[0,0,1] neg_hi:[0,0,1]
	v_mov_b32_e32 v73, v71
	v_mov_b32_e32 v97, v179
	v_pk_add_f32 v[94:95], v[96:97], v[94:95]
	v_pk_fma_f32 v[96:97], v[0:1], s[14:15], v[180:181] neg_lo:[0,0,1] neg_hi:[0,0,1]
	v_pk_fma_f32 v[70:71], v[42:43], s[14:15], v[76:77] neg_lo:[0,0,1] neg_hi:[0,0,1]
	v_mov_b32_e32 v97, v183
	v_pk_add_f32 v[94:95], v[96:97], v[94:95]
	v_pk_fma_f32 v[96:97], v[44:45], s[14:15], v[130:131] neg_lo:[0,0,1] neg_hi:[0,0,1]
	v_mov_b32_e32 v71, v75
	v_mov_b32_e32 v97, v133
	v_pk_add_f32 v[96:97], v[96:97], v[30:31]
	v_pk_add_f32 v[72:73], v[72:73], v[30:31]
	;; [unrolled: 1-line block ×3, first 2 shown]
	v_pk_fma_f32 v[98:99], v[40:41], s[24:25], v[142:143] neg_lo:[0,0,1] neg_hi:[0,0,1]
	v_pk_add_f32 v[70:71], v[70:71], v[72:73]
	v_mov_b32_e32 v99, v145
	v_pk_add_f32 v[96:97], v[96:97], v[98:99]
	v_pk_fma_f32 v[98:99], v[38:39], s[12:13], v[146:147] neg_lo:[0,0,1] neg_hi:[0,0,1]
	v_pk_fma_f32 v[72:73], v[40:41], s[18:19], v[80:81] neg_lo:[0,0,1] neg_hi:[0,0,1]
	v_mov_b32_e32 v99, v149
	v_pk_add_f32 v[96:97], v[98:99], v[96:97]
	v_pk_fma_f32 v[98:99], v[36:37], s[42:43], v[150:151] neg_lo:[0,0,1] neg_hi:[0,0,1]
	v_mov_b32_e32 v73, v79
	v_mov_b32_e32 v99, v153
	v_pk_add_f32 v[96:97], v[98:99], v[96:97]
	v_pk_fma_f32 v[98:99], v[0:1], s[44:45], v[154:155] neg_lo:[0,0,1] neg_hi:[0,0,1]
	v_pk_add_f32 v[70:71], v[70:71], v[72:73]
	v_mov_b32_e32 v99, v157
	v_pk_add_f32 v[96:97], v[98:99], v[96:97]
	ds_write2_b64 v48, v[94:95], v[96:97] offset0:8 offset1:9
	v_pk_fma_f32 v[94:95], v[44:45], s[12:13], v[104:105] neg_lo:[0,0,1] neg_hi:[0,0,1]
	v_pk_fma_f32 v[96:97], v[42:43], s[18:19], v[108:109] neg_lo:[0,0,1] neg_hi:[0,0,1]
	v_mov_b32_e32 v95, v103
	v_mov_b32_e32 v97, v107
	v_pk_add_f32 v[94:95], v[94:95], v[30:31]
	v_pk_fma_f32 v[44:45], v[44:45], s[4:5], v[46:47] neg_lo:[0,0,1] neg_hi:[0,0,1]
	v_pk_add_f32 v[94:95], v[96:97], v[94:95]
	v_pk_fma_f32 v[96:97], v[40:41], s[28:29], v[114:115] neg_lo:[0,0,1] neg_hi:[0,0,1]
	v_pk_fma_f32 v[72:73], v[38:39], s[20:21], v[84:85] neg_lo:[0,0,1] neg_hi:[0,0,1]
	v_mov_b32_e32 v97, v113
	v_pk_add_f32 v[94:95], v[94:95], v[96:97]
	v_pk_fma_f32 v[96:97], v[38:39], s[24:25], v[118:119] neg_lo:[0,0,1] neg_hi:[0,0,1]
	v_mov_b32_e32 v45, v49
	v_pk_fma_f32 v[42:43], v[42:43], s[10:11], v[50:51] neg_lo:[0,0,1] neg_hi:[0,0,1]
	v_mov_b32_e32 v97, v117
	v_mov_b32_e32 v73, v83
	v_pk_add_f32 v[30:31], v[44:45], v[30:31]
	v_mov_b32_e32 v43, v53
	v_pk_fma_f32 v[40:41], v[40:41], s[12:13], v[54:55] neg_lo:[0,0,1] neg_hi:[0,0,1]
	v_pk_add_f32 v[94:95], v[96:97], v[94:95]
	v_pk_fma_f32 v[96:97], v[36:37], s[10:11], v[122:123] neg_lo:[0,0,1] neg_hi:[0,0,1]
	v_pk_add_f32 v[70:71], v[72:73], v[70:71]
	;; [unrolled: 2-line block ×3, first 2 shown]
	v_mov_b32_e32 v41, v57
	v_pk_fma_f32 v[38:39], v[38:39], s[14:15], v[58:59] neg_lo:[0,0,1] neg_hi:[0,0,1]
	v_mov_b32_e32 v97, v121
	v_mov_b32_e32 v73, v87
	v_pk_add_f32 v[30:31], v[30:31], v[40:41]
	v_mov_b32_e32 v39, v61
	v_pk_fma_f32 v[36:37], v[36:37], s[16:17], v[62:63] neg_lo:[0,0,1] neg_hi:[0,0,1]
	v_pk_add_f32 v[94:95], v[96:97], v[94:95]
	v_pk_fma_f32 v[96:97], v[0:1], s[16:17], v[134:135] neg_lo:[0,0,1] neg_hi:[0,0,1]
	v_pk_add_f32 v[70:71], v[72:73], v[70:71]
	;; [unrolled: 2-line block ×3, first 2 shown]
	v_mov_b32_e32 v37, v65
	v_pk_fma_f32 v[0:1], v[0:1], s[18:19], v[66:67] neg_lo:[0,0,1] neg_hi:[0,0,1]
	v_mov_b32_e32 v97, v125
	v_mov_b32_e32 v73, v91
	v_pk_add_f32 v[30:31], v[36:37], v[30:31]
	v_mov_b32_e32 v1, v69
	v_pk_add_f32 v[94:95], v[96:97], v[94:95]
	v_pk_add_f32 v[70:71], v[72:73], v[70:71]
	;; [unrolled: 1-line block ×3, first 2 shown]
	v_cmp_eq_u32_e64 s[0:1], 0, v34
	ds_write2_b64 v48, v[94:95], v[70:71] offset0:10 offset1:11
	ds_write_b64 v48, v[0:1] offset:96
	s_and_saveexec_b64 s[58:59], s[0:1]
	s_cbranch_execz .LBB0_17
; %bb.16:
	v_pk_add_f32 v[0:1], v[4:5], v[28:29]
	v_pk_add_f32 v[78:79], v[28:29], v[6:7]
	v_pk_add_f32 v[0:1], v[0:1], v[26:27]
	v_pk_add_f32 v[30:31], v[28:29], v[6:7] neg_lo:[0,1] neg_hi:[0,1]
	v_pk_add_f32 v[0:1], v[0:1], v[16:17]
	v_pk_add_f32 v[76:77], v[26:27], v[8:9]
	v_pk_add_f32 v[0:1], v[0:1], v[18:19]
	v_pk_add_f32 v[36:37], v[26:27], v[8:9] neg_lo:[0,1] neg_hi:[0,1]
	;; [unrolled: 4-line block ×5, first 2 shown]
	v_pk_add_f32 v[0:1], v[8:9], v[0:1]
	v_pk_add_f32 v[68:69], v[22:23], v[24:25]
	;; [unrolled: 1-line block ×3, first 2 shown]
	v_mov_b32_e32 v0, v78
	v_mov_b32_e32 v78, v31
	;; [unrolled: 1-line block ×3, first 2 shown]
	v_pk_mul_f32 v[8:9], v[78:79], s[50:51]
	v_pk_add_f32 v[44:45], v[22:23], v[24:25] neg_lo:[0,1] neg_hi:[0,1]
	v_pk_fma_f32 v[6:7], v[0:1], s[4:5], v[8:9]
	v_pk_fma_f32 v[10:11], v[0:1], s[4:5], v[8:9] neg_lo:[1,0,0] neg_hi:[1,0,0]
	v_lshl_add_u32 v35, v35, 3, 0
	v_mov_b32_e32 v10, v6
	v_pk_add_f32 v[16:17], v[4:5], v[10:11]
	v_mov_b32_e32 v10, v76
	v_mov_b32_e32 v76, v37
	;; [unrolled: 1-line block ×3, first 2 shown]
	v_pk_mul_f32 v[14:15], v[76:77], s[30:31]
	v_pk_mul_f32 v[50:51], v[76:77], s[26:27]
	v_pk_fma_f32 v[12:13], v[10:11], s[10:11], v[14:15]
	v_pk_fma_f32 v[18:19], v[10:11], s[10:11], v[14:15] neg_lo:[1,0,0] neg_hi:[1,0,0]
	v_pk_fma_f32 v[54:55], v[10:11], s[14:15], v[50:51] neg_lo:[1,0,0] neg_hi:[1,0,0]
	v_mov_b32_e32 v18, v12
	v_pk_add_f32 v[22:23], v[16:17], v[18:19]
	v_mov_b32_e32 v16, v74
	v_mov_b32_e32 v74, v39
	;; [unrolled: 1-line block ×3, first 2 shown]
	v_pk_mul_f32 v[20:21], v[74:75], s[38:39]
	v_pk_mul_f32 v[88:89], v[76:77], s[36:37]
	v_pk_fma_f32 v[18:19], v[16:17], s[12:13], v[20:21]
	v_pk_fma_f32 v[24:25], v[16:17], s[12:13], v[20:21] neg_lo:[1,0,0] neg_hi:[1,0,0]
	v_pk_fma_f32 v[90:91], v[10:11], s[18:19], v[88:89]
	v_mov_b32_e32 v24, v18
	v_pk_add_f32 v[28:29], v[22:23], v[24:25]
	v_mov_b32_e32 v22, v72
	v_mov_b32_e32 v72, v41
	;; [unrolled: 1-line block ×3, first 2 shown]
	v_pk_mul_f32 v[26:27], v[72:73], s[26:27]
	v_pk_fma_f32 v[92:93], v[10:11], s[18:19], v[88:89] neg_lo:[1,0,0] neg_hi:[1,0,0]
	v_pk_fma_f32 v[24:25], v[22:23], s[14:15], v[26:27]
	v_pk_fma_f32 v[30:31], v[22:23], s[14:15], v[26:27] neg_lo:[1,0,0] neg_hi:[1,0,0]
	v_mov_b32_e32 v92, v90
	v_mov_b32_e32 v30, v24
	v_pk_add_f32 v[38:39], v[28:29], v[30:31]
	v_mov_b32_e32 v28, v70
	v_mov_b32_e32 v70, v43
	;; [unrolled: 1-line block ×3, first 2 shown]
	v_pk_mul_f32 v[36:37], v[70:71], s[34:35]
	v_pk_mul_f32 v[110:111], v[76:77], s[48:49]
	v_pk_fma_f32 v[30:31], v[28:29], s[16:17], v[36:37]
	v_pk_fma_f32 v[40:41], v[28:29], s[16:17], v[36:37] neg_lo:[1,0,0] neg_hi:[1,0,0]
	v_pk_fma_f32 v[112:113], v[10:11], s[20:21], v[110:111]
	v_mov_b32_e32 v40, v30
	v_pk_add_f32 v[48:49], v[38:39], v[40:41]
	v_mov_b32_e32 v38, v68
	v_mov_b32_e32 v68, v45
	;; [unrolled: 1-line block ×3, first 2 shown]
	v_pk_mul_f32 v[42:43], v[68:69], s[36:37]
	v_pk_fma_f32 v[114:115], v[10:11], s[20:21], v[110:111] neg_lo:[1,0,0] neg_hi:[1,0,0]
	v_pk_fma_f32 v[40:41], v[38:39], s[18:19], v[42:43]
	v_pk_fma_f32 v[44:45], v[38:39], s[18:19], v[42:43] neg_lo:[1,0,0] neg_hi:[1,0,0]
	v_mov_b32_e32 v114, v112
	v_mov_b32_e32 v44, v40
	v_pk_add_f32 v[44:45], v[48:49], v[44:45]
	ds_write2_b64 v35, v[46:47], v[44:45] offset0:169 offset1:170
	v_pk_mul_f32 v[46:47], v[78:79], s[30:31]
	v_pk_mul_f32 v[138:139], v[76:77], s[40:41]
	v_pk_fma_f32 v[44:45], v[0:1], s[10:11], v[46:47]
	v_pk_fma_f32 v[48:49], v[0:1], s[10:11], v[46:47] neg_lo:[1,0,0] neg_hi:[1,0,0]
	v_pk_fma_f32 v[140:141], v[10:11], s[22:23], v[138:139]
	v_mov_b32_e32 v48, v44
	v_pk_add_f32 v[52:53], v[4:5], v[48:49]
	v_pk_fma_f32 v[48:49], v[10:11], s[14:15], v[50:51]
	v_pk_fma_f32 v[142:143], v[10:11], s[22:23], v[138:139] neg_lo:[1,0,0] neg_hi:[1,0,0]
	v_mov_b32_e32 v54, v48
	v_pk_add_f32 v[56:57], v[52:53], v[54:55]
	v_pk_mul_f32 v[54:55], v[74:75], s[36:37]
	v_mov_b32_e32 v142, v140
	v_pk_fma_f32 v[52:53], v[16:17], s[18:19], v[54:55]
	v_pk_fma_f32 v[58:59], v[16:17], s[18:19], v[54:55] neg_lo:[1,0,0] neg_hi:[1,0,0]
	v_pk_mul_f32 v[76:77], v[76:77], s[46:47]
	v_mov_b32_e32 v58, v52
	v_pk_add_f32 v[60:61], v[56:57], v[58:59]
	v_pk_mul_f32 v[58:59], v[72:73], s[48:49]
	v_pk_fma_f32 v[160:161], v[10:11], s[24:25], v[76:77] neg_lo:[1,0,0] neg_hi:[1,0,0]
	v_pk_fma_f32 v[56:57], v[22:23], s[20:21], v[58:59]
	v_pk_fma_f32 v[62:63], v[22:23], s[20:21], v[58:59] neg_lo:[1,0,0] neg_hi:[1,0,0]
	v_pk_fma_f32 v[46:47], v[0:1], s[10:11], v[46:47] neg_lo:[0,0,1] neg_hi:[0,0,1]
	v_mov_b32_e32 v62, v56
	v_pk_add_f32 v[64:65], v[60:61], v[62:63]
	v_pk_mul_f32 v[62:63], v[70:71], s[40:41]
	v_mov_b32_e32 v47, v45
	v_pk_fma_f32 v[60:61], v[28:29], s[22:23], v[62:63]
	v_pk_fma_f32 v[66:67], v[28:29], s[22:23], v[62:63] neg_lo:[1,0,0] neg_hi:[1,0,0]
	v_pk_add_f32 v[44:45], v[4:5], v[46:47]
	v_mov_b32_e32 v66, v60
	v_pk_add_f32 v[80:81], v[64:65], v[66:67]
	v_pk_mul_f32 v[66:67], v[68:69], s[46:47]
	v_pk_fma_f32 v[46:47], v[10:11], s[14:15], v[50:51] neg_lo:[0,0,1] neg_hi:[0,0,1]
	v_pk_fma_f32 v[64:65], v[38:39], s[24:25], v[66:67]
	v_pk_fma_f32 v[82:83], v[38:39], s[24:25], v[66:67] neg_lo:[1,0,0] neg_hi:[1,0,0]
	v_mov_b32_e32 v47, v49
	v_mov_b32_e32 v82, v64
	v_pk_add_f32 v[80:81], v[80:81], v[82:83]
	v_pk_mul_f32 v[82:83], v[78:79], s[38:39]
	v_pk_add_f32 v[44:45], v[44:45], v[46:47]
	v_pk_fma_f32 v[84:85], v[0:1], s[12:13], v[82:83]
	v_pk_fma_f32 v[86:87], v[0:1], s[12:13], v[82:83] neg_lo:[1,0,0] neg_hi:[1,0,0]
	v_pk_fma_f32 v[46:47], v[16:17], s[18:19], v[54:55] neg_lo:[0,0,1] neg_hi:[0,0,1]
	v_mov_b32_e32 v86, v84
	v_pk_add_f32 v[86:87], v[4:5], v[86:87]
	v_mov_b32_e32 v47, v53
	v_pk_add_f32 v[86:87], v[86:87], v[92:93]
	v_pk_mul_f32 v[92:93], v[74:75], s[56:57]
	v_pk_add_f32 v[44:45], v[44:45], v[46:47]
	v_pk_fma_f32 v[94:95], v[16:17], s[28:29], v[92:93]
	v_pk_fma_f32 v[96:97], v[16:17], s[28:29], v[92:93] neg_lo:[1,0,0] neg_hi:[1,0,0]
	v_pk_fma_f32 v[46:47], v[22:23], s[20:21], v[58:59] neg_lo:[0,0,1] neg_hi:[0,0,1]
	v_mov_b32_e32 v96, v94
	v_pk_add_f32 v[86:87], v[86:87], v[96:97]
	v_pk_mul_f32 v[96:97], v[72:73], s[46:47]
	v_mov_b32_e32 v47, v57
	v_pk_fma_f32 v[98:99], v[22:23], s[24:25], v[96:97]
	v_pk_fma_f32 v[100:101], v[22:23], s[24:25], v[96:97] neg_lo:[1,0,0] neg_hi:[1,0,0]
	v_pk_add_f32 v[44:45], v[44:45], v[46:47]
	v_mov_b32_e32 v100, v98
	v_pk_add_f32 v[86:87], v[86:87], v[100:101]
	v_pk_mul_f32 v[100:101], v[70:71], s[30:31]
	v_pk_fma_f32 v[46:47], v[28:29], s[22:23], v[62:63] neg_lo:[0,0,1] neg_hi:[0,0,1]
	v_pk_fma_f32 v[102:103], v[28:29], s[10:11], v[100:101]
	v_pk_fma_f32 v[104:105], v[28:29], s[10:11], v[100:101] neg_lo:[1,0,0] neg_hi:[1,0,0]
	v_mov_b32_e32 v47, v61
	v_mov_b32_e32 v104, v102
	v_pk_add_f32 v[86:87], v[86:87], v[104:105]
	v_pk_mul_f32 v[104:105], v[68:69], s[34:35]
	v_pk_add_f32 v[44:45], v[44:45], v[46:47]
	v_pk_fma_f32 v[106:107], v[38:39], s[16:17], v[104:105]
	v_pk_fma_f32 v[108:109], v[38:39], s[16:17], v[104:105] neg_lo:[1,0,0] neg_hi:[1,0,0]
	v_pk_fma_f32 v[46:47], v[38:39], s[24:25], v[66:67] neg_lo:[0,0,1] neg_hi:[0,0,1]
	v_mov_b32_e32 v108, v106
	v_pk_add_f32 v[86:87], v[86:87], v[108:109]
	ds_write2_b64 v35, v[80:81], v[86:87] offset0:171 offset1:172
	v_pk_mul_f32 v[80:81], v[78:79], s[26:27]
	v_mov_b32_e32 v47, v65
	v_pk_fma_f32 v[86:87], v[0:1], s[14:15], v[80:81]
	v_pk_fma_f32 v[108:109], v[0:1], s[14:15], v[80:81] neg_lo:[1,0,0] neg_hi:[1,0,0]
	v_pk_add_f32 v[44:45], v[44:45], v[46:47]
	v_mov_b32_e32 v108, v86
	v_pk_add_f32 v[108:109], v[4:5], v[108:109]
	s_nop 0
	v_pk_add_f32 v[108:109], v[108:109], v[114:115]
	v_pk_mul_f32 v[114:115], v[74:75], s[46:47]
	s_nop 0
	v_pk_fma_f32 v[116:117], v[16:17], s[24:25], v[114:115]
	v_pk_fma_f32 v[118:119], v[16:17], s[24:25], v[114:115] neg_lo:[1,0,0] neg_hi:[1,0,0]
	s_nop 0
	v_mov_b32_e32 v118, v116
	v_pk_add_f32 v[108:109], v[108:109], v[118:119]
	v_pk_mul_f32 v[118:119], v[72:73], s[38:39]
	s_nop 0
	v_pk_fma_f32 v[120:121], v[22:23], s[12:13], v[118:119]
	v_pk_fma_f32 v[122:123], v[22:23], s[12:13], v[118:119] neg_lo:[1,0,0] neg_hi:[1,0,0]
	s_nop 0
	v_mov_b32_e32 v122, v120
	;; [unrolled: 7-line block ×4, first 2 shown]
	v_pk_add_f32 v[108:109], v[108:109], v[132:133]
	v_pk_mul_f32 v[132:133], v[78:79], s[34:35]
	v_pk_mul_f32 v[78:79], v[78:79], s[36:37]
	v_pk_fma_f32 v[134:135], v[0:1], s[16:17], v[132:133]
	v_pk_fma_f32 v[136:137], v[0:1], s[16:17], v[132:133] neg_lo:[1,0,0] neg_hi:[1,0,0]
	s_nop 0
	v_mov_b32_e32 v136, v134
	v_pk_add_f32 v[136:137], v[4:5], v[136:137]
	s_nop 0
	v_pk_add_f32 v[136:137], v[136:137], v[142:143]
	v_pk_mul_f32 v[142:143], v[74:75], s[30:31]
	v_pk_mul_f32 v[74:75], v[74:75], s[34:35]
	v_pk_fma_f32 v[144:145], v[16:17], s[10:11], v[142:143]
	v_pk_fma_f32 v[146:147], v[16:17], s[10:11], v[142:143] neg_lo:[1,0,0] neg_hi:[1,0,0]
	v_pk_fma_f32 v[162:163], v[16:17], s[16:17], v[74:75] neg_lo:[1,0,0] neg_hi:[1,0,0]
	v_mov_b32_e32 v146, v144
	v_pk_add_f32 v[136:137], v[136:137], v[146:147]
	v_pk_mul_f32 v[146:147], v[72:73], s[54:55]
	v_pk_mul_f32 v[72:73], v[72:73], s[52:53]
	v_pk_fma_f32 v[148:149], v[22:23], s[42:43], v[146:147]
	v_pk_fma_f32 v[150:151], v[22:23], s[42:43], v[146:147] neg_lo:[1,0,0] neg_hi:[1,0,0]
	v_pk_fma_f32 v[164:165], v[22:23], s[44:45], v[72:73] neg_lo:[1,0,0] neg_hi:[1,0,0]
	v_mov_b32_e32 v150, v148
	;; [unrolled: 7-line block ×4, first 2 shown]
	v_pk_add_f32 v[136:137], v[136:137], v[158:159]
	ds_write2_b64 v35, v[108:109], v[136:137] offset0:173 offset1:174
	v_pk_fma_f32 v[108:109], v[0:1], s[18:19], v[78:79]
	v_pk_fma_f32 v[136:137], v[0:1], s[18:19], v[78:79] neg_lo:[1,0,0] neg_hi:[1,0,0]
	v_pk_fma_f32 v[158:159], v[10:11], s[24:25], v[76:77]
	v_mov_b32_e32 v136, v108
	v_pk_add_f32 v[136:137], v[4:5], v[136:137]
	v_mov_b32_e32 v160, v158
	v_pk_add_f32 v[136:137], v[136:137], v[160:161]
	v_pk_fma_f32 v[160:161], v[16:17], s[16:17], v[74:75]
	v_pk_fma_f32 v[78:79], v[0:1], s[18:19], v[78:79] neg_lo:[0,0,1] neg_hi:[0,0,1]
	v_mov_b32_e32 v162, v160
	v_pk_add_f32 v[136:137], v[136:137], v[162:163]
	v_pk_fma_f32 v[162:163], v[22:23], s[44:45], v[72:73]
	v_mov_b32_e32 v79, v109
	v_pk_fma_f32 v[76:77], v[10:11], s[24:25], v[76:77] neg_lo:[0,0,1] neg_hi:[0,0,1]
	v_mov_b32_e32 v164, v162
	v_pk_add_f32 v[78:79], v[4:5], v[78:79]
	v_mov_b32_e32 v77, v159
	v_pk_fma_f32 v[74:75], v[16:17], s[16:17], v[74:75] neg_lo:[0,0,1] neg_hi:[0,0,1]
	v_pk_add_f32 v[136:137], v[136:137], v[164:165]
	v_pk_fma_f32 v[164:165], v[28:29], s[14:15], v[70:71]
	v_pk_add_f32 v[76:77], v[78:79], v[76:77]
	v_mov_b32_e32 v75, v161
	v_pk_fma_f32 v[72:73], v[22:23], s[44:45], v[72:73] neg_lo:[0,0,1] neg_hi:[0,0,1]
	v_mov_b32_e32 v166, v164
	v_pk_add_f32 v[74:75], v[76:77], v[74:75]
	v_mov_b32_e32 v73, v163
	v_pk_fma_f32 v[70:71], v[28:29], s[14:15], v[70:71] neg_lo:[0,0,1] neg_hi:[0,0,1]
	v_pk_add_f32 v[136:137], v[136:137], v[166:167]
	v_pk_fma_f32 v[166:167], v[38:39], s[22:23], v[68:69]
	v_pk_add_f32 v[72:73], v[74:75], v[72:73]
	v_mov_b32_e32 v71, v165
	v_pk_fma_f32 v[68:69], v[38:39], s[22:23], v[68:69] neg_lo:[0,0,1] neg_hi:[0,0,1]
	v_mov_b32_e32 v168, v166
	v_pk_add_f32 v[70:71], v[72:73], v[70:71]
	v_mov_b32_e32 v69, v167
	v_pk_add_f32 v[136:137], v[136:137], v[168:169]
	v_pk_add_f32 v[68:69], v[70:71], v[68:69]
	ds_write2_b64 v35, v[136:137], v[68:69] offset0:175 offset1:176
	v_pk_fma_f32 v[68:69], v[0:1], s[16:17], v[132:133] neg_lo:[0,0,1] neg_hi:[0,0,1]
	v_pk_fma_f32 v[70:71], v[10:11], s[22:23], v[138:139] neg_lo:[0,0,1] neg_hi:[0,0,1]
	v_mov_b32_e32 v69, v135
	v_pk_add_f32 v[68:69], v[4:5], v[68:69]
	v_mov_b32_e32 v71, v141
	v_pk_add_f32 v[68:69], v[68:69], v[70:71]
	v_pk_fma_f32 v[70:71], v[16:17], s[10:11], v[142:143] neg_lo:[0,0,1] neg_hi:[0,0,1]
	v_pk_fma_f32 v[72:73], v[10:11], s[20:21], v[110:111] neg_lo:[0,0,1] neg_hi:[0,0,1]
	v_mov_b32_e32 v71, v145
	v_pk_add_f32 v[68:69], v[68:69], v[70:71]
	v_pk_fma_f32 v[70:71], v[22:23], s[42:43], v[146:147] neg_lo:[0,0,1] neg_hi:[0,0,1]
	v_mov_b32_e32 v73, v113
	v_mov_b32_e32 v71, v149
	v_pk_add_f32 v[68:69], v[68:69], v[70:71]
	v_pk_fma_f32 v[70:71], v[28:29], s[24:25], v[150:151] neg_lo:[0,0,1] neg_hi:[0,0,1]
	s_nop 0
	v_mov_b32_e32 v71, v153
	v_pk_add_f32 v[68:69], v[68:69], v[70:71]
	v_pk_fma_f32 v[70:71], v[38:39], s[14:15], v[154:155] neg_lo:[0,0,1] neg_hi:[0,0,1]
	s_nop 0
	v_mov_b32_e32 v71, v157
	v_pk_add_f32 v[68:69], v[68:69], v[70:71]
	v_pk_fma_f32 v[70:71], v[0:1], s[14:15], v[80:81] neg_lo:[0,0,1] neg_hi:[0,0,1]
	s_nop 0
	v_mov_b32_e32 v71, v87
	v_pk_add_f32 v[70:71], v[4:5], v[70:71]
	s_nop 0
	v_pk_add_f32 v[70:71], v[70:71], v[72:73]
	v_pk_fma_f32 v[72:73], v[16:17], s[24:25], v[114:115] neg_lo:[0,0,1] neg_hi:[0,0,1]
	s_nop 0
	v_mov_b32_e32 v73, v117
	v_pk_add_f32 v[70:71], v[70:71], v[72:73]
	v_pk_fma_f32 v[72:73], v[22:23], s[12:13], v[118:119] neg_lo:[0,0,1] neg_hi:[0,0,1]
	s_nop 0
	v_mov_b32_e32 v73, v121
	v_pk_add_f32 v[70:71], v[70:71], v[72:73]
	v_pk_fma_f32 v[72:73], v[28:29], s[42:43], v[122:123] neg_lo:[0,0,1] neg_hi:[0,0,1]
	s_nop 0
	v_mov_b32_e32 v73, v125
	v_pk_add_f32 v[70:71], v[70:71], v[72:73]
	v_pk_fma_f32 v[72:73], v[38:39], s[44:45], v[128:129] neg_lo:[0,0,1] neg_hi:[0,0,1]
	s_nop 0
	v_mov_b32_e32 v73, v131
	v_pk_add_f32 v[70:71], v[70:71], v[72:73]
	ds_write2_b64 v35, v[68:69], v[70:71] offset0:177 offset1:178
	v_pk_fma_f32 v[68:69], v[0:1], s[12:13], v[82:83] neg_lo:[0,0,1] neg_hi:[0,0,1]
	v_pk_fma_f32 v[0:1], v[0:1], s[4:5], v[8:9] neg_lo:[0,0,1] neg_hi:[0,0,1]
	v_mov_b32_e32 v69, v85
	v_mov_b32_e32 v1, v7
	v_pk_add_f32 v[68:69], v[4:5], v[68:69]
	v_pk_fma_f32 v[70:71], v[10:11], s[18:19], v[88:89] neg_lo:[0,0,1] neg_hi:[0,0,1]
	v_pk_add_f32 v[0:1], v[4:5], v[0:1]
	v_pk_fma_f32 v[4:5], v[10:11], s[10:11], v[14:15] neg_lo:[0,0,1] neg_hi:[0,0,1]
	v_mov_b32_e32 v71, v91
	v_mov_b32_e32 v5, v13
	v_pk_add_f32 v[68:69], v[68:69], v[70:71]
	v_pk_fma_f32 v[70:71], v[16:17], s[28:29], v[92:93] neg_lo:[0,0,1] neg_hi:[0,0,1]
	v_pk_add_f32 v[0:1], v[0:1], v[4:5]
	;; [unrolled: 6-line block ×5, first 2 shown]
	v_pk_fma_f32 v[4:5], v[38:39], s[18:19], v[42:43] neg_lo:[0,0,1] neg_hi:[0,0,1]
	v_mov_b32_e32 v71, v107
	v_mov_b32_e32 v5, v41
	v_pk_add_f32 v[68:69], v[68:69], v[70:71]
	v_pk_add_f32 v[0:1], v[0:1], v[4:5]
	ds_write2_b64 v35, v[68:69], v[44:45] offset0:179 offset1:180
	ds_write_b64 v35, v[0:1] offset:1448
.LBB0_17:
	s_or_b64 exec, exec, s[58:59]
	v_add_u16_e32 v4, 26, v34
	s_movk_i32 s0, 0x4f
	v_mul_lo_u16_sdwa v5, v4, s0 dst_sel:DWORD dst_unused:UNUSED_PAD src0_sel:BYTE_0 src1_sel:DWORD
	v_lshrrev_b16_e32 v5, 10, v5
	v_mul_lo_u16_e32 v5, 13, v5
	v_sub_u16_e32 v4, v4, v5
	v_add_u16_e32 v5, 39, v34
	v_mul_lo_u16_sdwa v6, v5, s0 dst_sel:DWORD dst_unused:UNUSED_PAD src0_sel:BYTE_0 src1_sel:DWORD
	v_lshrrev_b16_e32 v6, 10, v6
	v_mul_lo_u16_e32 v6, 13, v6
	v_sub_u16_e32 v5, v5, v6
	v_add_u16_e32 v6, 52, v34
	v_mul_lo_u16_sdwa v7, v6, s0 dst_sel:DWORD dst_unused:UNUSED_PAD src0_sel:BYTE_0 src1_sel:DWORD
	v_lshrrev_b16_e32 v7, 10, v7
	v_mul_lo_u16_e32 v7, 13, v7
	v_sub_u16_e32 v6, v6, v7
	v_mov_b32_e32 v7, 3
	v_lshlrev_b32_sdwa v37, v7, v6 dst_sel:DWORD dst_unused:UNUSED_PAD src0_sel:DWORD src1_sel:BYTE_0
	v_add_u16_e32 v6, 0x41, v34
	v_mul_lo_u16_sdwa v8, v6, s0 dst_sel:DWORD dst_unused:UNUSED_PAD src0_sel:BYTE_0 src1_sel:DWORD
	v_lshrrev_b16_e32 v8, 10, v8
	v_mul_lo_u16_e32 v8, 13, v8
	v_sub_u16_e32 v6, v6, v8
	v_lshlrev_b32_sdwa v39, v7, v6 dst_sel:DWORD dst_unused:UNUSED_PAD src0_sel:DWORD src1_sel:BYTE_0
	v_add_u16_e32 v6, 0x4e, v34
	v_mul_lo_u16_sdwa v8, v6, s0 dst_sel:DWORD dst_unused:UNUSED_PAD src0_sel:BYTE_0 src1_sel:DWORD
	v_lshrrev_b16_e32 v8, 10, v8
	v_mul_lo_u16_e32 v8, 13, v8
	v_sub_u16_e32 v6, v6, v8
	s_waitcnt lgkmcnt(0)
	; wave barrier
	s_waitcnt lgkmcnt(0)
	v_lshlrev_b32_sdwa v50, v7, v6 dst_sel:DWORD dst_unused:UNUSED_PAD src0_sel:DWORD src1_sel:BYTE_0
	global_load_dwordx2 v[28:29], v37, s[8:9]
	global_load_dwordx2 v[30:31], v39, s[8:9]
	;; [unrolled: 1-line block ×3, first 2 shown]
	v_mov_b32_e32 v35, 0
	v_lshlrev_b32_sdwa v52, v7, v5 dst_sel:DWORD dst_unused:UNUSED_PAD src0_sel:DWORD src1_sel:BYTE_0
	v_lshl_add_u64 v[0:1], v[34:35], 3, s[8:9]
	v_lshlrev_b32_sdwa v51, v7, v4 dst_sel:DWORD dst_unused:UNUSED_PAD src0_sel:DWORD src1_sel:BYTE_0
	global_load_dwordx2 v[42:43], v52, s[8:9]
	global_load_dwordx2 v[44:45], v51, s[8:9]
	global_load_dwordx2 v[46:47], v[0:1], off
	v_lshlrev_b32_e32 v0, 3, v34
	v_add_u32_e32 v53, 0, v126
	v_add3_u32 v36, 0, v0, v126
	v_add_u32_e32 v38, v53, v0
	ds_read2_b64 v[4:7], v36 offset0:91 offset1:104
	ds_read2_b64 v[8:11], v36 offset0:117 offset1:130
	;; [unrolled: 1-line block ×6, first 2 shown]
	ds_read_b64 v[0:1], v36 offset:1352
	ds_read_b64 v[48:49], v38
	v_add_u32_e32 v64, v53, v51
	v_add_u32_e32 v65, v53, v52
	;; [unrolled: 1-line block ×5, first 2 shown]
	s_waitcnt lgkmcnt(0)
	; wave barrier
	s_waitcnt vmcnt(5) lgkmcnt(0)
	v_pk_mul_f32 v[54:55], v[16:17], v[28:29] op_sel:[0,1]
	s_waitcnt vmcnt(4)
	v_pk_mul_f32 v[52:53], v[18:19], v[30:31] op_sel:[0,1]
	s_waitcnt vmcnt(3)
	;; [unrolled: 2-line block ×3, first 2 shown]
	v_pk_mul_f32 v[56:57], v[42:43], v[10:11] op_sel:[0,1]
	v_pk_fma_f32 v[62:63], v[0:1], v[40:41], v[50:51] op_sel:[0,0,1] op_sel_hi:[1,1,0]
	v_pk_fma_f32 v[0:1], v[0:1], v[40:41], v[50:51] op_sel:[0,0,1] op_sel_hi:[1,0,0] neg_lo:[0,0,1] neg_hi:[0,0,1]
	v_pk_fma_f32 v[40:41], v[18:19], v[30:31], v[52:53] op_sel:[0,0,1] op_sel_hi:[1,1,0]
	v_pk_fma_f32 v[18:19], v[18:19], v[30:31], v[52:53] op_sel:[0,0,1] op_sel_hi:[1,0,0] neg_lo:[0,0,1] neg_hi:[0,0,1]
	;; [unrolled: 2-line block ×3, first 2 shown]
	s_waitcnt vmcnt(1)
	v_pk_mul_f32 v[58:59], v[44:45], v[8:9] op_sel:[0,1]
	s_waitcnt vmcnt(0)
	v_pk_mul_f32 v[60:61], v[46:47], v[4:5] op_sel:[0,1]
	v_pk_fma_f32 v[28:29], v[42:43], v[10:11], v[56:57] op_sel:[0,0,1] op_sel_hi:[1,1,0]
	v_pk_fma_f32 v[10:11], v[42:43], v[10:11], v[56:57] op_sel:[0,0,1] op_sel_hi:[1,0,0] neg_lo:[1,0,0] neg_hi:[1,0,0]
	v_mov_b32_e32 v31, v17
	v_pk_fma_f32 v[42:43], v[44:45], v[8:9], v[58:59] op_sel:[0,0,1] op_sel_hi:[1,1,0]
	v_pk_fma_f32 v[8:9], v[44:45], v[8:9], v[58:59] op_sel:[0,0,1] op_sel_hi:[1,0,0] neg_lo:[1,0,0] neg_hi:[1,0,0]
	v_pk_fma_f32 v[44:45], v[46:47], v[4:5], v[60:61] op_sel:[0,0,1] op_sel_hi:[1,1,0]
	v_mov_b32_e32 v41, v19
	v_mov_b32_e32 v29, v11
	v_pk_add_f32 v[10:11], v[22:23], v[30:31] neg_lo:[0,1] neg_hi:[0,1]
	v_pk_fma_f32 v[4:5], v[46:47], v[4:5], v[60:61] op_sel:[0,0,1] op_sel_hi:[1,0,0] neg_lo:[1,0,0] neg_hi:[1,0,0]
	v_pk_mul_f32 v[30:31], v[46:47], v[6:7] op_sel:[0,1]
	v_mov_b32_e32 v43, v9
	v_pk_add_f32 v[8:9], v[12:13], v[40:41] neg_lo:[0,1] neg_hi:[0,1]
	v_mov_b32_e32 v45, v5
	v_pk_fma_f32 v[40:41], v[46:47], v[6:7], v[30:31] op_sel:[0,0,1] op_sel_hi:[1,1,0]
	v_pk_fma_f32 v[6:7], v[46:47], v[6:7], v[30:31] op_sel:[0,0,1] op_sel_hi:[1,0,0] neg_lo:[1,0,0] neg_hi:[1,0,0]
	v_mov_b32_e32 v63, v1
	v_pk_add_f32 v[4:5], v[48:49], v[44:45] neg_lo:[0,1] neg_hi:[0,1]
	v_mov_b32_e32 v41, v7
	v_pk_add_f32 v[0:1], v[14:15], v[62:63] neg_lo:[0,1] neg_hi:[0,1]
	v_pk_add_f32 v[16:17], v[20:21], v[28:29] neg_lo:[0,1] neg_hi:[0,1]
	;; [unrolled: 1-line block ×3, first 2 shown]
	v_pk_fma_f32 v[28:29], v[48:49], 2.0, v[4:5] op_sel_hi:[1,0,1] neg_lo:[0,0,1] neg_hi:[0,0,1]
	v_pk_add_f32 v[6:7], v[24:25], v[40:41] neg_lo:[0,1] neg_hi:[0,1]
	v_pk_fma_f32 v[14:15], v[14:15], 2.0, v[0:1] op_sel_hi:[1,0,1] neg_lo:[0,0,1] neg_hi:[0,0,1]
	v_pk_fma_f32 v[12:13], v[12:13], 2.0, v[8:9] op_sel_hi:[1,0,1] neg_lo:[0,0,1] neg_hi:[0,0,1]
	;; [unrolled: 1-line block ×6, first 2 shown]
	ds_write2_b64 v36, v[28:29], v[4:5] offset1:13
	ds_write2_b64 v36, v[24:25], v[6:7] offset0:26 offset1:39
	ds_write2_b64 v64, v[26:27], v[18:19] offset0:52 offset1:65
	;; [unrolled: 1-line block ×6, first 2 shown]
	s_waitcnt lgkmcnt(0)
	; wave barrier
	s_waitcnt lgkmcnt(0)
	s_and_saveexec_b64 s[0:1], vcc
	s_cbranch_execz .LBB0_19
; %bb.18:
	v_mul_u32_u24_e32 v0, 6, v34
	v_lshlrev_b32_e32 v0, 3, v0
	v_add_u32_e32 v1, 13, v34
	global_load_dwordx4 v[40:43], v0, s[8:9] offset:120
	global_load_dwordx4 v[44:47], v0, s[8:9] offset:136
	v_mul_u32_u24_e32 v1, 6, v1
	v_lshlrev_b32_e32 v1, 3, v1
	global_load_dwordx4 v[4:7], v1, s[8:9] offset:104
	global_load_dwordx4 v[12:15], v1, s[8:9] offset:136
	;; [unrolled: 1-line block ×4, first 2 shown]
	v_mad_u64_u32 v[56:57], s[0:1], s2, v2, 0
	s_mov_b32 s1, 0x4ec4ec4f
	v_mul_lo_u32 v39, s3, v2
	v_mul_lo_u32 v60, s2, v3
	ds_read2_b64 v[8:11], v36 offset0:39 offset1:52
	ds_read2_b64 v[16:19], v36 offset0:117 offset1:130
	;; [unrolled: 1-line block ×6, first 2 shown]
	ds_read_b64 v[36:37], v36 offset:1352
	ds_read_b64 v[58:59], v38
	v_mul_hi_u32 v38, v34, s1
	v_add3_u32 v57, v57, v60, v39
	v_lshrrev_b32_e32 v60, 3, v38
	v_lshl_add_u64 v[38:39], v[56:57], 3, s[6:7]
	v_mul_lo_u32 v60, v60, 26
	v_lshl_add_u64 v[56:57], v[32:33], 3, v[38:39]
	v_sub_u32_e32 v33, v34, v60
	v_lshlrev_b32_e32 v60, 3, v33
	s_waitcnt lgkmcnt(5)
	v_mov_b32_e32 v64, v22
	s_waitcnt lgkmcnt(2)
	v_mov_b32_e32 v65, v3
	v_mov_b32_e32 v62, v27
	;; [unrolled: 1-line block ×5, first 2 shown]
	s_mov_b32 s2, 0xbeae86e6
	s_mov_b32 s10, 0x3f4a47b2
	;; [unrolled: 1-line block ×10, first 2 shown]
	v_mov_b32_e32 v61, v35
	v_lshl_add_u64 v[60:61], v[56:57], 0, v[60:61]
	s_mov_b32 s6, 0xbf5ff5aa
	s_mov_b32 s8, 0x3f3bfb3b
	v_mov_b32_e32 v38, v29
	v_mov_b32_e32 v32, v25
	s_waitcnt vmcnt(5)
	v_mul_f32_e32 v70, v41, v27
	s_waitcnt vmcnt(4)
	v_mul_f32_e32 v33, v45, v19
	v_pk_mul_f32 v[72:73], v[30:31], v[46:47] op_sel:[1,0] op_sel_hi:[0,1]
	v_mul_f32_e32 v39, v45, v18
	v_mov_b32_e32 v75, v46
	v_mov_b32_e32 v46, v41
	;; [unrolled: 1-line block ×3, first 2 shown]
	s_waitcnt vmcnt(3)
	v_pk_mul_f32 v[78:79], v[4:5], v[8:9]
	s_waitcnt vmcnt(2) lgkmcnt(1)
	v_pk_mul_f32 v[80:81], v[14:15], v[36:37]
	v_pk_mul_f32 v[82:83], v[28:29], v[12:13] op_sel:[1,0] op_sel_hi:[0,1]
	v_pk_mul_f32 v[84:85], v[24:25], v[6:7] op_sel:[1,0] op_sel_hi:[0,1]
	v_fmac_f32_e32 v33, v44, v18
	s_waitcnt vmcnt(1)
	v_mul_f32_e32 v18, v48, v3
	v_mov_b32_e32 v77, v48
	v_mov_b32_e32 v48, v43
	v_mul_f32_e32 v68, v40, v26
	v_mul_f32_e32 v30, v43, v23
	v_mov_b32_e32 v74, v40
	v_mov_b32_e32 v76, v42
	v_mul_f32_e32 v23, v51, v11
	v_fma_f32 v71, v44, v19, -v39
	v_mul_f32_e32 v31, v51, v10
	v_mul_f32_e32 v2, v49, v2
	v_mov_b32_e32 v19, v72
	v_mov_b32_e32 v3, v73
	v_pk_mul_f32 v[26:27], v[46:47], v[26:27]
	v_mov_b32_e32 v44, v78
	v_mov_b32_e32 v45, v80
	;; [unrolled: 1-line block ×6, first 2 shown]
	v_pk_mul_f32 v[48:49], v[48:49], v[64:65]
	v_mul_f32_e32 v22, v42, v22
	v_fmac_f32_e32 v23, v50, v10
	v_fma_f32 v69, v50, v11, -v31
	v_pk_add_f32 v[50:51], v[18:19], v[2:3] neg_lo:[0,1] neg_hi:[0,1]
	v_pk_fma_f32 v[40:41], v[40:41], v[62:63], v[26:27] neg_lo:[0,0,1] neg_hi:[0,0,1]
	v_pk_fma_f32 v[2:3], v[74:75], v[62:63], v[26:27]
	v_pk_add_f32 v[18:19], v[44:45], v[80:81]
	v_pk_add_f32 v[10:11], v[46:47], v[82:83] neg_lo:[0,1] neg_hi:[0,1]
	v_pk_fma_f32 v[42:43], v[42:43], v[66:67], v[48:49] neg_lo:[0,0,1] neg_hi:[0,0,1]
	v_pk_fma_f32 v[48:49], v[76:77], v[66:67], v[48:49]
	v_sub_f32_e32 v27, v23, v33
	v_add_f32_e32 v44, v23, v33
	v_mov_b32_e32 v41, v3
	v_mov_b32_e32 v2, v11
	;; [unrolled: 1-line block ×6, first 2 shown]
	v_pk_add_f32 v[46:47], v[68:69], v[70:71]
	v_pk_add_f32 v[62:63], v[10:11], v[2:3]
	;; [unrolled: 1-line block ×4, first 2 shown]
	v_mov_b32_e32 v26, v51
	v_pk_add_f32 v[22:23], v[22:23], v[30:31]
	v_pk_add_f32 v[64:65], v[50:51], v[26:27] neg_lo:[0,1] neg_hi:[0,1]
	v_mov_b32_e32 v30, v69
	v_mov_b32_e32 v31, v22
	;; [unrolled: 1-line block ×7, first 2 shown]
	v_pk_add_f32 v[66:67], v[42:43], v[40:41] neg_lo:[0,1] neg_hi:[0,1]
	v_pk_add_f32 v[30:31], v[30:31], v[50:51] neg_lo:[0,1] neg_hi:[0,1]
	v_pk_add_f32 v[40:41], v[70:71], v[44:45]
	v_pk_add_f32 v[42:43], v[22:23], v[46:47]
	v_mov_b32_e32 v65, v31
	v_mov_b32_e32 v26, v66
	v_pk_add_f32 v[70:71], v[40:41], v[42:43]
	v_mov_b32_e32 v40, v49
	v_mov_b32_e32 v43, v47
	v_pk_add_f32 v[50:51], v[64:65], v[26:27] neg_lo:[0,1] neg_hi:[0,1]
	v_mov_b32_e32 v68, v66
	v_mov_b32_e32 v69, v31
	;; [unrolled: 1-line block ×3, first 2 shown]
	v_pk_add_f32 v[72:73], v[40:41], v[42:43] neg_lo:[0,1] neg_hi:[0,1]
	v_mov_b32_e32 v43, v23
	v_mov_b32_e32 v45, v41
	v_pk_mul_f32 v[50:51], v[50:51], s[2:3]
	v_pk_add_f32 v[68:69], v[68:69], v[26:27]
	v_mov_b32_e32 v65, v67
	v_pk_add_f32 v[30:31], v[66:67], v[30:31] neg_lo:[0,1] neg_hi:[0,1]
	s_waitcnt lgkmcnt(0)
	v_pk_add_f32 v[58:59], v[70:71], v[58:59]
	v_pk_mul_f32 v[72:73], v[72:73], s[10:11]
	v_pk_add_f32 v[40:41], v[42:43], v[44:45] neg_lo:[0,1] neg_hi:[0,1]
	v_pk_add_f32 v[68:69], v[64:65], v[68:69]
	v_pk_mul_f32 v[66:67], v[30:31], s[4:5]
	v_pk_fma_f32 v[30:31], v[30:31], s[4:5], v[50:51]
	v_pk_mul_f32 v[42:43], v[40:41], s[14:15]
	v_pk_fma_f32 v[40:41], v[40:41], s[14:15], v[72:73]
	v_pk_fma_f32 v[70:71], v[70:71], s[12:13], v[58:59] op_sel_hi:[1,0,1] neg_lo:[1,0,0] neg_hi:[1,0,0]
	v_pk_fma_f32 v[30:31], v[68:69], s[0:1], v[30:31] op_sel_hi:[1,0,1]
	v_pk_add_f32 v[40:41], v[40:41], v[70:71]
	v_mov_b32_e32 v45, v47
	v_pk_add_f32 v[74:75], v[40:41], v[30:31]
	v_pk_add_f32 v[30:31], v[40:41], v[30:31] neg_lo:[0,1] neg_hi:[0,1]
	v_mov_b32_e32 v40, v74
	v_mov_b32_e32 v41, v31
	v_mov_b32_e32 v22, v49
	global_store_dwordx2 v[60:61], v[40:41], off offset:208
	v_pk_add_f32 v[26:27], v[26:27], v[64:65] neg_lo:[0,1] neg_hi:[0,1]
	v_mov_b32_e32 v40, v50
	v_mov_b32_e32 v41, v67
	v_pk_add_f32 v[22:23], v[44:45], v[22:23] neg_lo:[0,1] neg_hi:[0,1]
	v_mov_b32_e32 v44, v72
	v_mov_b32_e32 v45, v43
	;; [unrolled: 1-line block ×4, first 2 shown]
	v_pk_fma_f32 v[40:41], v[26:27], s[6:7], v[40:41] op_sel_hi:[1,0,1] neg_lo:[1,0,1] neg_hi:[1,0,1]
	v_pk_fma_f32 v[44:45], v[22:23], s[8:9], v[44:45] op_sel_hi:[1,0,1] neg_lo:[1,0,1] neg_hi:[1,0,1]
	;; [unrolled: 1-line block ×4, first 2 shown]
	v_pk_fma_f32 v[26:27], v[68:69], s[0:1], v[26:27] op_sel_hi:[1,0,1]
	v_pk_add_f32 v[22:23], v[22:23], v[70:71]
	v_add_u32_e32 v3, 13, v34
	v_pk_add_f32 v[42:43], v[22:23], v[26:27] neg_lo:[0,1] neg_hi:[0,1]
	v_pk_add_f32 v[22:23], v[22:23], v[26:27]
	v_pk_fma_f32 v[40:41], v[68:69], s[0:1], v[40:41] op_sel_hi:[1,0,1]
	v_mov_b32_e32 v27, v23
	v_mov_b32_e32 v23, v43
	global_store_dwordx2 v[60:61], v[22:23], off offset:832
	v_mul_hi_u32 v22, v3, s1
	v_lshrrev_b32_e32 v23, 3, v22
	v_mul_lo_u32 v22, v23, 26
	v_sub_u32_e32 v22, v3, v22
	s_movk_i32 s1, 0xb6
	v_pk_add_f32 v[44:45], v[44:45], v[70:71]
	v_mad_u64_u32 v[22:23], s[16:17], v23, s1, v[22:23]
	v_pk_add_f32 v[46:47], v[44:45], v[40:41]
	v_pk_add_f32 v[40:41], v[44:45], v[40:41] neg_lo:[0,1] neg_hi:[0,1]
	v_mov_b32_e32 v31, v75
	v_add_u32_e32 v34, 26, v22
	v_mov_b32_e32 v45, v41
	v_mov_b32_e32 v41, v47
	global_store_dwordx2 v[60:61], v[30:31], off offset:1248
	v_lshl_add_u64 v[30:31], v[34:35], 3, v[56:57]
	v_add_u32_e32 v34, 52, v22
	global_store_dwordx2 v[60:61], v[40:41], off offset:1040
	v_lshl_add_u64 v[40:41], v[34:35], 3, v[56:57]
	v_add_u32_e32 v34, 0x4e, v22
	v_mov_b32_e32 v44, v46
	v_mov_b32_e32 v26, v42
	v_lshl_add_u64 v[42:43], v[34:35], 3, v[56:57]
	v_add_u32_e32 v34, 0x68, v22
	global_store_dwordx2 v[60:61], v[44:45], off offset:416
	v_lshl_add_u64 v[44:45], v[34:35], 3, v[56:57]
	v_add_u32_e32 v34, 0x82, v22
	v_mov_b32_e32 v23, v35
	v_lshl_add_u64 v[46:47], v[34:35], 3, v[56:57]
	v_add_u32_e32 v34, 0x9c, v22
	v_mov_b32_e32 v39, v20
	v_mov_b32_e32 v50, v13
	s_waitcnt vmcnt(5)
	v_mov_b32_e32 v51, v53
	global_store_dwordx2 v[60:61], v[26:27], off offset:624
	v_lshl_add_u64 v[26:27], v[22:23], 3, v[56:57]
	v_lshl_add_u64 v[22:23], v[34:35], 3, v[56:57]
	v_mov_b32_e32 v34, v12
	v_mov_b32_e32 v35, v52
	;; [unrolled: 1-line block ×4, first 2 shown]
	v_pk_mul_f32 v[38:39], v[38:39], v[50:51]
	v_mov_b32_e32 v33, v16
	v_pk_fma_f32 v[12:13], v[12:13], v[28:29], v[38:39]
	v_pk_fma_f32 v[28:29], v[34:35], v[48:49], v[38:39] neg_lo:[0,0,1] neg_hi:[0,0,1]
	v_mov_b32_e32 v48, v7
	v_mov_b32_e32 v49, v55
	;; [unrolled: 1-line block ×6, first 2 shown]
	v_pk_mul_f32 v[32:33], v[32:33], v[48:49]
	v_mov_b32_e32 v13, v29
	v_pk_fma_f32 v[6:7], v[6:7], v[24:25], v[32:33]
	v_pk_fma_f32 v[24:25], v[34:35], v[38:39], v[32:33] neg_lo:[0,0,1] neg_hi:[0,0,1]
	v_mov_b32_e32 v35, v14
	v_mov_b32_e32 v38, v20
	;; [unrolled: 1-line block ×7, first 2 shown]
	v_pk_mul_f32 v[14:15], v[20:21], v[14:15]
	v_mov_b32_e32 v7, v25
	v_pk_fma_f32 v[20:21], v[34:35], v[38:39], v[14:15]
	v_pk_fma_f32 v[14:15], v[34:35], v[38:39], v[14:15] neg_lo:[0,0,1] neg_hi:[0,0,1]
	v_mov_b32_e32 v34, v16
	v_mov_b32_e32 v21, v15
	;; [unrolled: 1-line block ×8, first 2 shown]
	v_pk_mul_f32 v[4:5], v[16:17], v[4:5]
	v_pk_add_f32 v[32:33], v[6:7], v[12:13] neg_lo:[0,1] neg_hi:[0,1]
	v_pk_fma_f32 v[8:9], v[14:15], v[34:35], v[4:5]
	v_pk_fma_f32 v[4:5], v[14:15], v[34:35], v[4:5] neg_lo:[0,0,1] neg_hi:[0,0,1]
	v_pk_add_f32 v[6:7], v[6:7], v[12:13]
	v_mov_b32_e32 v9, v5
	v_pk_add_f32 v[4:5], v[8:9], v[20:21]
	v_mov_b32_e32 v3, v7
	v_mov_b32_e32 v12, v4
	;; [unrolled: 1-line block ×3, first 2 shown]
	v_pk_add_f32 v[12:13], v[2:3], v[12:13] neg_lo:[0,1] neg_hi:[0,1]
	v_mov_b32_e32 v34, v6
	v_mov_b32_e32 v35, v62
	;; [unrolled: 1-line block ×3, first 2 shown]
	v_pk_add_f32 v[14:15], v[4:5], v[6:7] neg_lo:[0,1] neg_hi:[0,1]
	v_pk_add_f32 v[36:37], v[2:3], v[34:35]
	v_mov_b32_e32 v5, v7
	v_pk_add_f32 v[4:5], v[4:5], v[36:37]
	v_pk_mul_f32 v[12:13], v[12:13], s[10:11]
	v_pk_add_f32 v[0:1], v[4:5], v[0:1]
	v_pk_mul_f32 v[16:17], v[14:15], s[14:15]
	v_pk_fma_f32 v[14:15], v[14:15], s[14:15], v[12:13]
	v_pk_fma_f32 v[4:5], v[4:5], s[12:13], v[0:1] op_sel_hi:[1,0,1] neg_lo:[1,0,0] neg_hi:[1,0,0]
	v_mov_b32_e32 v24, v25
	v_mov_b32_e32 v25, v18
	;; [unrolled: 1-line block ×3, first 2 shown]
	v_pk_add_f32 v[6:7], v[14:15], v[4:5]
	v_pk_add_f32 v[14:15], v[8:9], v[20:21] neg_lo:[0,1] neg_hi:[0,1]
	v_pk_add_f32 v[18:19], v[24:25], v[18:19] neg_lo:[0,1] neg_hi:[0,1]
	v_mov_b32_e32 v24, v10
	v_mov_b32_e32 v25, v8
	;; [unrolled: 1-line block ×4, first 2 shown]
	v_pk_add_f32 v[8:9], v[24:25], v[8:9] neg_lo:[0,1] neg_hi:[0,1]
	v_mov_b32_e32 v10, v15
	v_mov_b32_e32 v11, v9
	;; [unrolled: 1-line block ×4, first 2 shown]
	v_pk_add_f32 v[10:11], v[10:11], v[20:21] neg_lo:[0,1] neg_hi:[0,1]
	v_pk_add_f32 v[20:21], v[18:19], v[8:9] neg_lo:[0,1] neg_hi:[0,1]
	v_mov_b32_e32 v28, v18
	v_mov_b32_e32 v29, v9
	v_mov_b32_e32 v9, v32
	v_pk_mul_f32 v[10:11], v[10:11], s[2:3]
	v_pk_add_f32 v[28:29], v[28:29], v[8:9]
	v_mov_b32_e32 v18, v15
	v_pk_mul_f32 v[24:25], v[20:21], s[4:5]
	v_pk_fma_f32 v[20:21], v[20:21], s[4:5], v[10:11]
	v_pk_add_f32 v[14:15], v[18:19], v[28:29]
	global_store_dwordx2 v[60:61], v[58:59], off
	v_pk_fma_f32 v[20:21], v[14:15], s[0:1], v[20:21] op_sel_hi:[1,0,1]
	global_store_dwordx2 v[26:27], v[0:1], off
	v_pk_add_f32 v[28:29], v[6:7], v[20:21] neg_lo:[0,1] neg_hi:[0,1]
	v_pk_add_f32 v[6:7], v[6:7], v[20:21]
	v_mov_b32_e32 v1, v29
	v_mov_b32_e32 v0, v6
	global_store_dwordx2 v[30:31], v[0:1], off
	v_mov_b32_e32 v0, v12
	v_mov_b32_e32 v1, v17
	v_pk_add_f32 v[2:3], v[34:35], v[2:3] neg_lo:[0,1] neg_hi:[0,1]
	v_mov_b32_e32 v17, v13
	v_pk_fma_f32 v[0:1], v[2:3], s[8:9], v[0:1] op_sel_hi:[1,0,1] neg_lo:[1,0,1] neg_hi:[1,0,1]
	v_pk_add_f32 v[8:9], v[8:9], v[18:19] neg_lo:[0,1] neg_hi:[0,1]
	v_mov_b32_e32 v18, v10
	v_mov_b32_e32 v19, v25
	v_pk_fma_f32 v[2:3], v[2:3], s[8:9], v[16:17] op_sel_hi:[1,0,1] neg_lo:[0,0,1] neg_hi:[0,0,1]
	v_mov_b32_e32 v25, v11
	v_pk_add_f32 v[0:1], v[0:1], v[4:5]
	v_pk_fma_f32 v[18:19], v[8:9], s[6:7], v[18:19] op_sel_hi:[1,0,1] neg_lo:[1,0,1] neg_hi:[1,0,1]
	v_pk_add_f32 v[2:3], v[2:3], v[4:5]
	v_pk_fma_f32 v[4:5], v[8:9], s[6:7], v[24:25] op_sel_hi:[1,0,1] neg_lo:[0,0,1] neg_hi:[0,0,1]
	v_pk_fma_f32 v[18:19], v[14:15], s[0:1], v[18:19] op_sel_hi:[1,0,1]
	v_pk_fma_f32 v[4:5], v[14:15], s[0:1], v[4:5] op_sel_hi:[1,0,1]
	v_pk_add_f32 v[20:21], v[0:1], v[18:19] neg_lo:[0,1] neg_hi:[0,1]
	v_pk_add_f32 v[0:1], v[0:1], v[18:19]
	v_pk_add_f32 v[8:9], v[2:3], v[4:5]
	v_pk_add_f32 v[2:3], v[2:3], v[4:5] neg_lo:[0,1] neg_hi:[0,1]
	v_mov_b32_e32 v18, v0
	v_mov_b32_e32 v19, v21
	;; [unrolled: 1-line block ×7, first 2 shown]
	global_store_dwordx2 v[40:41], v[18:19], off
	global_store_dwordx2 v[42:43], v[4:5], off
	;; [unrolled: 1-line block ×5, first 2 shown]
.LBB0_19:
	s_endpgm
	.section	.rodata,"a",@progbits
	.p2align	6, 0x0
	.amdhsa_kernel fft_rtc_back_len182_factors_13_2_7_wgs_52_tpt_13_sp_op_CI_CI_unitstride_sbrr_dirReg
		.amdhsa_group_segment_fixed_size 0
		.amdhsa_private_segment_fixed_size 0
		.amdhsa_kernarg_size 104
		.amdhsa_user_sgpr_count 2
		.amdhsa_user_sgpr_dispatch_ptr 0
		.amdhsa_user_sgpr_queue_ptr 0
		.amdhsa_user_sgpr_kernarg_segment_ptr 1
		.amdhsa_user_sgpr_dispatch_id 0
		.amdhsa_user_sgpr_kernarg_preload_length 0
		.amdhsa_user_sgpr_kernarg_preload_offset 0
		.amdhsa_user_sgpr_private_segment_size 0
		.amdhsa_uses_dynamic_stack 0
		.amdhsa_enable_private_segment 0
		.amdhsa_system_sgpr_workgroup_id_x 1
		.amdhsa_system_sgpr_workgroup_id_y 0
		.amdhsa_system_sgpr_workgroup_id_z 0
		.amdhsa_system_sgpr_workgroup_info 0
		.amdhsa_system_vgpr_workitem_id 0
		.amdhsa_next_free_vgpr 196
		.amdhsa_next_free_sgpr 60
		.amdhsa_accum_offset 196
		.amdhsa_reserve_vcc 1
		.amdhsa_float_round_mode_32 0
		.amdhsa_float_round_mode_16_64 0
		.amdhsa_float_denorm_mode_32 3
		.amdhsa_float_denorm_mode_16_64 3
		.amdhsa_dx10_clamp 1
		.amdhsa_ieee_mode 1
		.amdhsa_fp16_overflow 0
		.amdhsa_tg_split 0
		.amdhsa_exception_fp_ieee_invalid_op 0
		.amdhsa_exception_fp_denorm_src 0
		.amdhsa_exception_fp_ieee_div_zero 0
		.amdhsa_exception_fp_ieee_overflow 0
		.amdhsa_exception_fp_ieee_underflow 0
		.amdhsa_exception_fp_ieee_inexact 0
		.amdhsa_exception_int_div_zero 0
	.end_amdhsa_kernel
	.text
.Lfunc_end0:
	.size	fft_rtc_back_len182_factors_13_2_7_wgs_52_tpt_13_sp_op_CI_CI_unitstride_sbrr_dirReg, .Lfunc_end0-fft_rtc_back_len182_factors_13_2_7_wgs_52_tpt_13_sp_op_CI_CI_unitstride_sbrr_dirReg
                                        ; -- End function
	.section	.AMDGPU.csdata,"",@progbits
; Kernel info:
; codeLenInByte = 9524
; NumSgprs: 66
; NumVgprs: 196
; NumAgprs: 0
; TotalNumVgprs: 196
; ScratchSize: 0
; MemoryBound: 0
; FloatMode: 240
; IeeeMode: 1
; LDSByteSize: 0 bytes/workgroup (compile time only)
; SGPRBlocks: 8
; VGPRBlocks: 24
; NumSGPRsForWavesPerEU: 66
; NumVGPRsForWavesPerEU: 196
; AccumOffset: 196
; Occupancy: 2
; WaveLimiterHint : 1
; COMPUTE_PGM_RSRC2:SCRATCH_EN: 0
; COMPUTE_PGM_RSRC2:USER_SGPR: 2
; COMPUTE_PGM_RSRC2:TRAP_HANDLER: 0
; COMPUTE_PGM_RSRC2:TGID_X_EN: 1
; COMPUTE_PGM_RSRC2:TGID_Y_EN: 0
; COMPUTE_PGM_RSRC2:TGID_Z_EN: 0
; COMPUTE_PGM_RSRC2:TIDIG_COMP_CNT: 0
; COMPUTE_PGM_RSRC3_GFX90A:ACCUM_OFFSET: 48
; COMPUTE_PGM_RSRC3_GFX90A:TG_SPLIT: 0
	.text
	.p2alignl 6, 3212836864
	.fill 256, 4, 3212836864
	.type	__hip_cuid_4a173ee9fc86344e,@object ; @__hip_cuid_4a173ee9fc86344e
	.section	.bss,"aw",@nobits
	.globl	__hip_cuid_4a173ee9fc86344e
__hip_cuid_4a173ee9fc86344e:
	.byte	0                               ; 0x0
	.size	__hip_cuid_4a173ee9fc86344e, 1

	.ident	"AMD clang version 19.0.0git (https://github.com/RadeonOpenCompute/llvm-project roc-6.4.0 25133 c7fe45cf4b819c5991fe208aaa96edf142730f1d)"
	.section	".note.GNU-stack","",@progbits
	.addrsig
	.addrsig_sym __hip_cuid_4a173ee9fc86344e
	.amdgpu_metadata
---
amdhsa.kernels:
  - .agpr_count:     0
    .args:
      - .actual_access:  read_only
        .address_space:  global
        .offset:         0
        .size:           8
        .value_kind:     global_buffer
      - .offset:         8
        .size:           8
        .value_kind:     by_value
      - .actual_access:  read_only
        .address_space:  global
        .offset:         16
        .size:           8
        .value_kind:     global_buffer
      - .actual_access:  read_only
        .address_space:  global
        .offset:         24
        .size:           8
        .value_kind:     global_buffer
      - .actual_access:  read_only
        .address_space:  global
        .offset:         32
        .size:           8
        .value_kind:     global_buffer
      - .offset:         40
        .size:           8
        .value_kind:     by_value
      - .actual_access:  read_only
        .address_space:  global
        .offset:         48
        .size:           8
        .value_kind:     global_buffer
      - .actual_access:  read_only
        .address_space:  global
        .offset:         56
        .size:           8
        .value_kind:     global_buffer
      - .offset:         64
        .size:           4
        .value_kind:     by_value
      - .actual_access:  read_only
        .address_space:  global
        .offset:         72
        .size:           8
        .value_kind:     global_buffer
      - .actual_access:  read_only
        .address_space:  global
        .offset:         80
        .size:           8
        .value_kind:     global_buffer
      - .actual_access:  read_only
        .address_space:  global
        .offset:         88
        .size:           8
        .value_kind:     global_buffer
      - .actual_access:  write_only
        .address_space:  global
        .offset:         96
        .size:           8
        .value_kind:     global_buffer
    .group_segment_fixed_size: 0
    .kernarg_segment_align: 8
    .kernarg_segment_size: 104
    .language:       OpenCL C
    .language_version:
      - 2
      - 0
    .max_flat_workgroup_size: 52
    .name:           fft_rtc_back_len182_factors_13_2_7_wgs_52_tpt_13_sp_op_CI_CI_unitstride_sbrr_dirReg
    .private_segment_fixed_size: 0
    .sgpr_count:     66
    .sgpr_spill_count: 0
    .symbol:         fft_rtc_back_len182_factors_13_2_7_wgs_52_tpt_13_sp_op_CI_CI_unitstride_sbrr_dirReg.kd
    .uniform_work_group_size: 1
    .uses_dynamic_stack: false
    .vgpr_count:     196
    .vgpr_spill_count: 0
    .wavefront_size: 64
amdhsa.target:   amdgcn-amd-amdhsa--gfx950
amdhsa.version:
  - 1
  - 2
...

	.end_amdgpu_metadata
